;; amdgpu-corpus repo=ROCm/rocFFT kind=compiled arch=gfx950 opt=O3
	.text
	.amdgcn_target "amdgcn-amd-amdhsa--gfx950"
	.amdhsa_code_object_version 6
	.protected	fft_rtc_fwd_len1078_factors_2_11_7_7_wgs_231_tpt_77_halfLds_sp_op_CI_CI_unitstride_sbrr_R2C_dirReg ; -- Begin function fft_rtc_fwd_len1078_factors_2_11_7_7_wgs_231_tpt_77_halfLds_sp_op_CI_CI_unitstride_sbrr_R2C_dirReg
	.globl	fft_rtc_fwd_len1078_factors_2_11_7_7_wgs_231_tpt_77_halfLds_sp_op_CI_CI_unitstride_sbrr_R2C_dirReg
	.p2align	8
	.type	fft_rtc_fwd_len1078_factors_2_11_7_7_wgs_231_tpt_77_halfLds_sp_op_CI_CI_unitstride_sbrr_R2C_dirReg,@function
fft_rtc_fwd_len1078_factors_2_11_7_7_wgs_231_tpt_77_halfLds_sp_op_CI_CI_unitstride_sbrr_R2C_dirReg: ; @fft_rtc_fwd_len1078_factors_2_11_7_7_wgs_231_tpt_77_halfLds_sp_op_CI_CI_unitstride_sbrr_R2C_dirReg
; %bb.0:
	s_load_dwordx4 s[4:7], s[0:1], 0x58
	s_load_dwordx4 s[8:11], s[0:1], 0x0
	;; [unrolled: 1-line block ×3, first 2 shown]
	v_mul_u32_u24_e32 v1, 0x354, v0
	v_lshrrev_b32_e32 v2, 16, v1
	v_mad_u64_u32 v[4:5], s[2:3], s2, 3, v[2:3]
	v_mov_b32_e32 v6, 0
	v_mov_b32_e32 v5, v6
	s_waitcnt lgkmcnt(0)
	v_cmp_lt_u64_e64 s[2:3], s[10:11], 2
	v_mov_b64_e32 v[2:3], 0
	s_and_b64 vcc, exec, s[2:3]
	v_mov_b64_e32 v[40:41], v[2:3]
	v_mov_b64_e32 v[42:43], v[4:5]
	s_cbranch_vccnz .LBB0_8
; %bb.1:
	s_load_dwordx2 s[2:3], s[0:1], 0x10
	s_add_u32 s16, s14, 8
	s_addc_u32 s17, s15, 0
	s_add_u32 s18, s12, 8
	s_addc_u32 s19, s13, 0
	s_waitcnt lgkmcnt(0)
	s_add_u32 s20, s2, 8
	v_mov_b64_e32 v[2:3], 0
	s_addc_u32 s21, s3, 0
	s_mov_b64 s[22:23], 1
	v_mov_b64_e32 v[40:41], v[2:3]
	v_mov_b64_e32 v[8:9], v[4:5]
.LBB0_2:                                ; =>This Inner Loop Header: Depth=1
	s_load_dwordx2 s[24:25], s[20:21], 0x0
                                        ; implicit-def: $vgpr42_vgpr43
	s_waitcnt lgkmcnt(0)
	v_or_b32_e32 v7, s25, v9
	v_cmp_ne_u64_e32 vcc, 0, v[6:7]
	s_and_saveexec_b64 s[2:3], vcc
	s_xor_b64 s[26:27], exec, s[2:3]
	s_cbranch_execz .LBB0_4
; %bb.3:                                ;   in Loop: Header=BB0_2 Depth=1
	v_cvt_f32_u32_e32 v1, s24
	v_cvt_f32_u32_e32 v5, s25
	s_sub_u32 s2, 0, s24
	s_subb_u32 s3, 0, s25
	v_fmac_f32_e32 v1, 0x4f800000, v5
	v_rcp_f32_e32 v1, v1
	s_nop 0
	v_mul_f32_e32 v1, 0x5f7ffffc, v1
	v_mul_f32_e32 v5, 0x2f800000, v1
	v_trunc_f32_e32 v5, v5
	v_fmac_f32_e32 v1, 0xcf800000, v5
	v_cvt_u32_f32_e32 v5, v5
	v_cvt_u32_f32_e32 v1, v1
	v_mul_lo_u32 v7, s2, v5
	v_mul_hi_u32 v10, s2, v1
	v_mul_lo_u32 v11, s3, v1
	v_add_u32_e32 v7, v10, v7
	v_mul_lo_u32 v14, s2, v1
	v_add_u32_e32 v7, v7, v11
	v_mul_hi_u32 v10, v1, v14
	v_mul_hi_u32 v13, v1, v7
	v_mul_lo_u32 v12, v1, v7
	v_mov_b32_e32 v11, v6
	v_lshl_add_u64 v[10:11], v[10:11], 0, v[12:13]
	v_mul_hi_u32 v13, v5, v14
	v_mul_lo_u32 v14, v5, v14
	v_add_co_u32_e32 v10, vcc, v10, v14
	v_mul_hi_u32 v12, v5, v7
	s_nop 0
	v_addc_co_u32_e32 v10, vcc, v11, v13, vcc
	v_mov_b32_e32 v11, v6
	s_nop 0
	v_addc_co_u32_e32 v13, vcc, 0, v12, vcc
	v_mul_lo_u32 v12, v5, v7
	v_lshl_add_u64 v[10:11], v[10:11], 0, v[12:13]
	v_add_co_u32_e32 v1, vcc, v1, v10
	v_mul_hi_u32 v10, s2, v1
	s_nop 0
	v_addc_co_u32_e32 v5, vcc, v5, v11, vcc
	v_mul_lo_u32 v7, s2, v5
	v_add_u32_e32 v7, v10, v7
	v_mul_lo_u32 v10, s3, v1
	v_add_u32_e32 v7, v7, v10
	v_mul_lo_u32 v12, s2, v1
	v_mul_hi_u32 v15, v5, v12
	v_mul_lo_u32 v16, v5, v12
	v_mul_hi_u32 v11, v1, v7
	;; [unrolled: 2-line block ×3, first 2 shown]
	v_mov_b32_e32 v13, v6
	v_lshl_add_u64 v[10:11], v[12:13], 0, v[10:11]
	v_add_co_u32_e32 v10, vcc, v10, v16
	v_mul_hi_u32 v14, v5, v7
	s_nop 0
	v_addc_co_u32_e32 v10, vcc, v11, v15, vcc
	v_mul_lo_u32 v12, v5, v7
	s_nop 0
	v_addc_co_u32_e32 v13, vcc, 0, v14, vcc
	v_mov_b32_e32 v11, v6
	v_lshl_add_u64 v[10:11], v[10:11], 0, v[12:13]
	v_add_co_u32_e32 v1, vcc, v1, v10
	v_mul_hi_u32 v12, v8, v1
	s_nop 0
	v_addc_co_u32_e32 v5, vcc, v5, v11, vcc
	v_mad_u64_u32 v[10:11], s[2:3], v8, v5, 0
	v_mov_b32_e32 v13, v6
	v_lshl_add_u64 v[10:11], v[12:13], 0, v[10:11]
	v_mad_u64_u32 v[14:15], s[2:3], v9, v1, 0
	v_add_co_u32_e32 v1, vcc, v10, v14
	v_mad_u64_u32 v[12:13], s[2:3], v9, v5, 0
	s_nop 0
	v_addc_co_u32_e32 v10, vcc, v11, v15, vcc
	v_mov_b32_e32 v11, v6
	s_nop 0
	v_addc_co_u32_e32 v13, vcc, 0, v13, vcc
	v_lshl_add_u64 v[10:11], v[10:11], 0, v[12:13]
	v_mul_lo_u32 v1, s25, v10
	v_mul_lo_u32 v5, s24, v11
	v_mad_u64_u32 v[12:13], s[2:3], s24, v10, 0
	v_add3_u32 v1, v13, v5, v1
	v_sub_u32_e32 v5, v9, v1
	v_mov_b32_e32 v7, s25
	v_sub_co_u32_e32 v16, vcc, v8, v12
	v_lshl_add_u64 v[14:15], v[10:11], 0, 1
	s_nop 0
	v_subb_co_u32_e64 v5, s[2:3], v5, v7, vcc
	v_subrev_co_u32_e64 v7, s[2:3], s24, v16
	v_subb_co_u32_e32 v1, vcc, v9, v1, vcc
	s_nop 0
	v_subbrev_co_u32_e64 v5, s[2:3], 0, v5, s[2:3]
	v_cmp_le_u32_e64 s[2:3], s25, v5
	v_cmp_le_u32_e32 vcc, s25, v1
	s_nop 0
	v_cndmask_b32_e64 v12, 0, -1, s[2:3]
	v_cmp_le_u32_e64 s[2:3], s24, v7
	s_nop 1
	v_cndmask_b32_e64 v7, 0, -1, s[2:3]
	v_cmp_eq_u32_e64 s[2:3], s25, v5
	s_nop 1
	v_cndmask_b32_e64 v5, v12, v7, s[2:3]
	v_lshl_add_u64 v[12:13], v[10:11], 0, 2
	v_cmp_ne_u32_e64 s[2:3], 0, v5
	v_cndmask_b32_e64 v7, 0, -1, vcc
	v_cmp_le_u32_e32 vcc, s24, v16
	v_cndmask_b32_e64 v5, v15, v13, s[2:3]
	s_nop 0
	v_cndmask_b32_e64 v13, 0, -1, vcc
	v_cmp_eq_u32_e32 vcc, s25, v1
	s_nop 1
	v_cndmask_b32_e32 v1, v7, v13, vcc
	v_cmp_ne_u32_e32 vcc, 0, v1
	v_cndmask_b32_e64 v1, v14, v12, s[2:3]
	s_nop 0
	v_cndmask_b32_e32 v43, v11, v5, vcc
	v_cndmask_b32_e32 v42, v10, v1, vcc
.LBB0_4:                                ;   in Loop: Header=BB0_2 Depth=1
	s_andn2_saveexec_b64 s[2:3], s[26:27]
	s_cbranch_execz .LBB0_6
; %bb.5:                                ;   in Loop: Header=BB0_2 Depth=1
	v_cvt_f32_u32_e32 v1, s24
	s_sub_i32 s26, 0, s24
	v_mov_b32_e32 v43, v6
	v_rcp_iflag_f32_e32 v1, v1
	s_nop 0
	v_mul_f32_e32 v1, 0x4f7ffffe, v1
	v_cvt_u32_f32_e32 v1, v1
	v_mul_lo_u32 v5, s26, v1
	v_mul_hi_u32 v5, v1, v5
	v_add_u32_e32 v1, v1, v5
	v_mul_hi_u32 v1, v8, v1
	v_mul_lo_u32 v5, v1, s24
	v_sub_u32_e32 v5, v8, v5
	v_add_u32_e32 v7, 1, v1
	v_subrev_u32_e32 v10, s24, v5
	v_cmp_le_u32_e32 vcc, s24, v5
	s_nop 1
	v_cndmask_b32_e32 v5, v5, v10, vcc
	v_cndmask_b32_e32 v1, v1, v7, vcc
	v_add_u32_e32 v7, 1, v1
	v_cmp_le_u32_e32 vcc, s24, v5
	s_nop 1
	v_cndmask_b32_e32 v42, v1, v7, vcc
.LBB0_6:                                ;   in Loop: Header=BB0_2 Depth=1
	s_or_b64 exec, exec, s[2:3]
	v_mad_u64_u32 v[10:11], s[2:3], v42, s24, 0
	s_load_dwordx2 s[2:3], s[18:19], 0x0
	s_add_u32 s22, s22, 1
	v_mul_lo_u32 v1, v43, s24
	v_mul_lo_u32 v5, v42, s25
	s_load_dwordx2 s[24:25], s[16:17], 0x0
	s_addc_u32 s23, s23, 0
	v_add3_u32 v1, v11, v5, v1
	v_sub_co_u32_e32 v5, vcc, v8, v10
	s_add_u32 s16, s16, 8
	s_nop 0
	v_subb_co_u32_e32 v1, vcc, v9, v1, vcc
	s_addc_u32 s17, s17, 0
	s_waitcnt lgkmcnt(0)
	v_mul_lo_u32 v7, s2, v1
	v_mul_lo_u32 v8, s3, v5
	v_mad_u64_u32 v[2:3], s[2:3], s2, v5, v[2:3]
	s_add_u32 s18, s18, 8
	v_add3_u32 v3, v8, v3, v7
	s_addc_u32 s19, s19, 0
	v_mov_b64_e32 v[8:9], s[10:11]
	v_mul_lo_u32 v1, s24, v1
	v_mul_lo_u32 v7, s25, v5
	v_mad_u64_u32 v[40:41], s[2:3], s24, v5, v[40:41]
	s_add_u32 s20, s20, 8
	v_cmp_ge_u64_e32 vcc, s[22:23], v[8:9]
	v_add3_u32 v41, v7, v41, v1
	s_addc_u32 s21, s21, 0
	s_cbranch_vccnz .LBB0_8
; %bb.7:                                ;   in Loop: Header=BB0_2 Depth=1
	v_mov_b64_e32 v[8:9], v[42:43]
	s_branch .LBB0_2
.LBB0_8:
	s_load_dwordx2 s[0:1], s[0:1], 0x28
	s_lshl_b64 s[16:17], s[10:11], 3
	s_mov_b32 s10, 0xaaaaaaab
	v_mul_hi_u32 v1, v4, s10
	v_lshrrev_b32_e32 v1, 1, v1
	s_add_u32 s2, s14, s16
	v_lshl_add_u32 v1, v1, 1, v1
	s_addc_u32 s3, s15, s17
	v_sub_u32_e32 v1, v4, v1
	s_waitcnt lgkmcnt(0)
	v_cmp_gt_u64_e32 vcc, s[0:1], v[42:43]
	v_cmp_le_u64_e64 s[0:1], s[0:1], v[42:43]
                                        ; implicit-def: $vgpr44
                                        ; implicit-def: $vgpr46
                                        ; implicit-def: $vgpr52
                                        ; implicit-def: $vgpr50
                                        ; implicit-def: $vgpr48
	s_and_saveexec_b64 s[10:11], s[0:1]
	s_xor_b64 s[0:1], exec, s[10:11]
; %bb.9:
	s_mov_b32 s10, 0x3531ded
	v_mul_hi_u32 v2, v0, s10
	v_mul_u32_u24_e32 v2, 0x4d, v2
	v_sub_u32_e32 v44, v0, v2
	v_add_u32_e32 v46, 0x4d, v44
	v_add_u32_e32 v52, 0x9a, v44
	;; [unrolled: 1-line block ×4, first 2 shown]
                                        ; implicit-def: $vgpr0
                                        ; implicit-def: $vgpr2_vgpr3
; %bb.10:
	s_or_saveexec_b64 s[10:11], s[0:1]
	v_mul_u32_u24_e32 v1, 0x437, v1
	v_lshlrev_b32_e32 v49, 3, v1
	s_xor_b64 exec, exec, s[10:11]
	s_cbranch_execz .LBB0_12
; %bb.11:
	s_add_u32 s0, s12, s16
	s_addc_u32 s1, s13, s17
	s_load_dwordx2 s[0:1], s[0:1], 0x0
	s_mov_b32 s12, 0x3531ded
	s_waitcnt lgkmcnt(0)
	v_mul_lo_u32 v1, s1, v42
	v_mul_lo_u32 v6, s0, v43
	v_mad_u64_u32 v[4:5], s[0:1], s0, v42, 0
	v_add3_u32 v5, v5, v6, v1
	v_mul_hi_u32 v1, v0, s12
	v_mul_u32_u24_e32 v1, 0x4d, v1
	v_sub_u32_e32 v44, v0, v1
	v_lshl_add_u64 v[0:1], v[4:5], 3, s[4:5]
	v_lshl_add_u64 v[0:1], v[2:3], 3, v[0:1]
	v_lshlrev_b32_e32 v2, 3, v44
	v_mov_b32_e32 v3, 0
	v_lshl_add_u64 v[0:1], v[0:1], 0, v[2:3]
	s_movk_i32 s0, 0x1000
	v_add_co_u32_e64 v12, s[0:1], s0, v0
	global_load_dwordx2 v[4:5], v[0:1], off
	global_load_dwordx2 v[6:7], v[0:1], off offset:616
	global_load_dwordx2 v[8:9], v[0:1], off offset:1232
	;; [unrolled: 1-line block ×3, first 2 shown]
	v_addc_co_u32_e64 v13, s[0:1], 0, v1, s[0:1]
	global_load_dwordx2 v[14:15], v[0:1], off offset:2464
	global_load_dwordx2 v[16:17], v[0:1], off offset:3080
	;; [unrolled: 1-line block ×10, first 2 shown]
	v_add_u32_e32 v46, 0x4d, v44
	v_add_u32_e32 v52, 0x9a, v44
	;; [unrolled: 1-line block ×4, first 2 shown]
	v_add3_u32 v0, 0, v49, v2
	v_add_u32_e32 v1, 0x800, v0
	v_add_u32_e32 v2, 0xc00, v0
	;; [unrolled: 1-line block ×4, first 2 shown]
	s_waitcnt vmcnt(12)
	ds_write2_b64 v0, v[4:5], v[6:7] offset1:77
	s_waitcnt vmcnt(10)
	ds_write2_b64 v0, v[8:9], v[10:11] offset0:154 offset1:231
	s_waitcnt vmcnt(8)
	ds_write2_b64 v1, v[14:15], v[16:17] offset0:52 offset1:129
	;; [unrolled: 2-line block ×6, first 2 shown]
.LBB0_12:
	s_or_b64 exec, exec, s[10:11]
	v_lshlrev_b32_e32 v45, 3, v44
	v_add3_u32 v47, 0, v45, v49
	v_add_u32_e32 v64, 0, v49
	v_add_u32_e32 v5, 0x800, v47
	;; [unrolled: 1-line block ×4, first 2 shown]
	s_load_dwordx2 s[2:3], s[2:3], 0x0
	s_waitcnt lgkmcnt(0)
	s_barrier
	v_add_u32_e32 v65, v64, v45
	ds_read2_b64 v[8:11], v5 offset0:129 offset1:206
	ds_read_b64 v[0:1], v47 offset:8008
	ds_read_b64 v[16:17], v65
	ds_read2_b64 v[12:15], v6 offset0:27 offset1:104
	ds_read2_b64 v[24:27], v51 offset0:79 offset1:156
	v_add_u32_e32 v7, 0x400, v47
	s_waitcnt lgkmcnt(3)
	v_pk_add_f32 v[2:3], v[10:11], v[0:1] neg_lo:[0,1] neg_hi:[0,1]
	v_add_u32_e32 v4, v47, v45
	s_waitcnt lgkmcnt(1)
	v_pk_add_f32 v[28:29], v[16:17], v[12:13] neg_lo:[0,1] neg_hi:[0,1]
	;; [unrolled: 3-line block ×3, first 2 shown]
	v_pk_fma_f32 v[0:1], v[10:11], 2.0, v[2:3] op_sel_hi:[1,0,1] neg_lo:[0,0,1] neg_hi:[0,0,1]
	v_pk_fma_f32 v[30:31], v[16:17], 2.0, v[28:29] op_sel_hi:[1,0,1] neg_lo:[0,0,1] neg_hi:[0,0,1]
	ds_read2_b64 v[16:19], v7 offset0:103 offset1:180
	ds_read2_b64 v[20:23], v12 offset0:53 offset1:130
	v_pk_fma_f32 v[26:27], v[8:9], 2.0, v[54:55] op_sel_hi:[1,0,1] neg_lo:[0,0,1] neg_hi:[0,0,1]
	ds_read2_b64 v[8:11], v47 offset0:77 offset1:154
	v_lshl_add_u32 v13, v46, 4, v64
	s_waitcnt lgkmcnt(2)
	v_pk_add_f32 v[24:25], v[18:19], v[24:25] neg_lo:[0,1] neg_hi:[0,1]
	s_waitcnt lgkmcnt(1)
	v_pk_add_f32 v[22:23], v[16:17], v[22:23] neg_lo:[0,1] neg_hi:[0,1]
	v_lshl_add_u32 v32, v52, 4, v64
	s_waitcnt lgkmcnt(0)
	v_pk_add_f32 v[20:21], v[10:11], v[20:21] neg_lo:[0,1] neg_hi:[0,1]
	v_pk_add_f32 v[14:15], v[8:9], v[14:15] neg_lo:[0,1] neg_hi:[0,1]
	v_add_u32_e32 v33, 0xe70, v4
	v_pk_fma_f32 v[16:17], v[16:17], 2.0, v[22:23] op_sel_hi:[1,0,1] neg_lo:[0,0,1] neg_hi:[0,0,1]
	v_lshl_add_u32 v34, v50, 4, v64
	v_add_u32_e32 v35, 0x1810, v4
	v_pk_fma_f32 v[18:19], v[18:19], 2.0, v[24:25] op_sel_hi:[1,0,1] neg_lo:[0,0,1] neg_hi:[0,0,1]
	v_pk_fma_f32 v[10:11], v[10:11], 2.0, v[20:21] op_sel_hi:[1,0,1] neg_lo:[0,0,1] neg_hi:[0,0,1]
	;; [unrolled: 1-line block ×3, first 2 shown]
	s_barrier
	ds_write2_b64 v4, v[30:31], v[28:29] offset1:1
	ds_write2_b64 v13, v[8:9], v[14:15] offset1:1
	;; [unrolled: 1-line block ×6, first 2 shown]
	v_lshl_add_u32 v4, v48, 4, v64
	ds_write2_b64 v4, v[0:1], v[2:3] offset1:1
	v_add_u32_e32 v4, 0xc00, v47
	s_waitcnt lgkmcnt(0)
	s_barrier
	ds_read_b64 v[56:57], v65
	ds_read2_b64 v[20:23], v47 offset0:98 offset1:196
	ds_read2_b64 v[32:35], v5 offset0:38 offset1:136
	;; [unrolled: 1-line block ×5, first 2 shown]
	v_cmp_gt_u32_e64 s[0:1], 21, v44
	v_lshlrev_b32_e32 v51, 3, v46
                                        ; implicit-def: $vgpr8
                                        ; implicit-def: $vgpr4
                                        ; implicit-def: $vgpr18
                                        ; implicit-def: $vgpr14
	s_and_saveexec_b64 s[4:5], s[0:1]
	s_cbranch_execz .LBB0_14
; %bb.13:
	v_add3_u32 v0, 0, v51, v49
	ds_read_b64 v[54:55], v0
	ds_read2_b64 v[0:3], v7 offset0:47 offset1:145
	ds_read2_b64 v[8:11], v5 offset0:115 offset1:213
	;; [unrolled: 1-line block ×4, first 2 shown]
	v_add_u32_e32 v16, 0x1c00, v47
	ds_read2_b64 v[16:19], v16 offset0:63 offset1:161
.LBB0_14:
	s_or_b64 exec, exec, s[4:5]
	v_and_b32_e32 v53, 1, v44
	v_mul_u32_u24_e32 v58, 10, v53
	v_lshlrev_b32_e32 v62, 3, v58
	global_load_dwordx4 v[58:61], v62, s[8:9]
	global_load_dwordx4 v[66:69], v62, s[8:9] offset:16
	global_load_dwordx4 v[70:73], v62, s[8:9] offset:32
	global_load_dwordx4 v[74:77], v62, s[8:9] offset:48
	global_load_dwordx4 v[78:81], v62, s[8:9] offset:64
	s_waitcnt lgkmcnt(4)
	v_mov_b32_e32 v62, v21
	v_lshrrev_b32_e32 v21, 1, v44
	v_mov_b32_e32 v63, v20
	v_mul_u32_u24_e32 v21, 22, v21
	v_or_b32_e32 v21, v21, v53
	v_lshlrev_b32_e32 v21, 3, v21
	v_add3_u32 v53, 0, v21, v49
	s_mov_b32 s4, 0xbf0a6770
	s_mov_b32 s5, 0x3f575c64
	;; [unrolled: 1-line block ×20, first 2 shown]
	s_waitcnt lgkmcnt(0)
	s_barrier
	s_mov_b32 s20, 0x3e903f40
	s_mov_b32 s44, s19
	;; [unrolled: 1-line block ×16, first 2 shown]
	s_waitcnt vmcnt(4)
	v_mov_b32_e32 v82, v59
	s_waitcnt vmcnt(3)
	v_pk_mul_f32 v[86:87], v[66:67], v[32:33] op_sel:[0,1]
	v_pk_mul_f32 v[88:89], v[68:69], v[34:35] op_sel:[0,1]
	s_waitcnt vmcnt(2)
	v_pk_mul_f32 v[90:91], v[70:71], v[36:37] op_sel:[0,1]
	v_pk_mul_f32 v[92:93], v[72:73], v[38:39] op_sel:[0,1]
	s_waitcnt vmcnt(1)
	v_pk_mul_f32 v[94:95], v[74:75], v[28:29] op_sel:[0,1]
	v_pk_mul_f32 v[84:85], v[58:59], v[62:63]
	v_pk_mul_f32 v[96:97], v[76:77], v[30:31] op_sel:[0,1]
	v_mov_b32_e32 v98, v61
	v_mov_b32_e32 v99, v60
	v_pk_fma_f32 v[102:103], v[66:67], v[32:33], v[86:87] op_sel:[0,0,1] op_sel_hi:[1,1,0] neg_lo:[0,0,1] neg_hi:[0,0,1]
	v_pk_fma_f32 v[32:33], v[66:67], v[32:33], v[86:87] op_sel:[0,0,1] op_sel_hi:[1,0,0]
	v_pk_fma_f32 v[66:67], v[68:69], v[34:35], v[88:89] op_sel:[0,0,1] op_sel_hi:[1,1,0] neg_lo:[0,0,1] neg_hi:[0,0,1]
	v_pk_fma_f32 v[34:35], v[68:69], v[34:35], v[88:89] op_sel:[0,0,1] op_sel_hi:[1,0,0]
	;; [unrolled: 2-line block ×5, first 2 shown]
	s_waitcnt vmcnt(0)
	v_pk_mul_f32 v[100:101], v[24:25], v[78:79] op_sel:[0,1]
	v_mov_b32_e32 v84, v81
	v_pk_fma_f32 v[74:75], v[76:77], v[30:31], v[96:97] op_sel:[0,0,1] op_sel_hi:[1,1,0] neg_lo:[0,0,1] neg_hi:[0,0,1]
	v_pk_fma_f32 v[30:31], v[76:77], v[30:31], v[96:97] op_sel:[0,0,1] op_sel_hi:[1,0,0]
	v_pk_mul_f32 v[76:77], v[82:83], v[62:63]
	v_mov_b32_e32 v28, v85
	v_pk_mul_f32 v[82:83], v[98:99], v[22:23] op_sel:[0,1]
	v_pk_fma_f32 v[86:87], v[24:25], v[78:79], v[100:101] op_sel:[0,0,1] op_sel_hi:[1,1,0] neg_lo:[0,0,1] neg_hi:[0,0,1]
	v_pk_fma_f32 v[24:25], v[24:25], v[78:79], v[100:101] op_sel:[0,0,1] op_sel_hi:[1,0,0]
	v_pk_mul_f32 v[78:79], v[26:27], v[84:85] op_sel_hi:[1,0]
	v_pk_fma_f32 v[20:21], v[58:59], v[20:21], v[76:77] op_sel_hi:[1,0,1] neg_lo:[0,0,1] neg_hi:[0,0,1]
	v_pk_fma_f32 v[58:59], v[58:59], v[62:63], v[28:29]
	v_pk_fma_f32 v[62:63], v[60:61], v[22:23], v[82:83] neg_lo:[0,0,1] neg_hi:[0,0,1]
	v_pk_fma_f32 v[22:23], v[60:61], v[22:23], v[82:83] op_sel_hi:[1,0,1]
	v_mov_b32_e32 v87, v25
	v_pk_fma_f32 v[24:25], v[26:27], v[80:81], v[78:79] op_sel:[0,0,1] op_sel_hi:[1,0,0] neg_lo:[0,0,1] neg_hi:[0,0,1]
	v_mov_b32_e32 v63, v23
	v_mov_b32_e32 v22, v20
	;; [unrolled: 1-line block ×4, first 2 shown]
	v_pk_add_f32 v[76:77], v[20:21], v[24:25]
	v_pk_add_f32 v[24:25], v[20:21], v[24:25] neg_lo:[0,1] neg_hi:[0,1]
	v_pk_add_f32 v[22:23], v[22:23], v[56:57]
	v_mov_b32_e32 v103, v33
	v_mov_b32_e32 v77, v24
	v_pk_add_f32 v[24:25], v[22:23], v[62:63]
	v_mov_b32_e32 v67, v35
	v_pk_add_f32 v[24:25], v[24:25], v[102:103]
	;; [unrolled: 2-line block ×4, first 2 shown]
	v_mov_b32_e32 v73, v29
	v_pk_fma_f32 v[26:27], v[26:27], v[80:81], v[78:79] op_sel:[0,0,1] op_sel_hi:[1,0,0]
	v_pk_add_f32 v[24:25], v[24:25], v[70:71]
	v_mov_b32_e32 v75, v31
	v_mov_b32_e32 v31, v58
	;; [unrolled: 1-line block ×3, first 2 shown]
	v_pk_add_f32 v[24:25], v[24:25], v[72:73]
	v_pk_add_f32 v[20:21], v[30:31], v[26:27]
	v_pk_add_f32 v[88:89], v[58:59], v[30:31] neg_lo:[0,1] neg_hi:[0,1]
	v_pk_add_f32 v[24:25], v[24:25], v[74:75]
	v_mov_b32_e32 v29, v27
	v_mov_b32_e32 v20, v88
	v_pk_mul_f32 v[22:23], v[76:77], s[16:17]
	v_pk_add_f32 v[24:25], v[24:25], v[86:87]
	v_pk_add_f32 v[80:81], v[66:67], v[72:73]
	v_pk_add_f32 v[60:61], v[66:67], v[72:73] neg_lo:[0,1] neg_hi:[0,1]
	v_pk_add_f32 v[66:67], v[24:25], v[28:29]
	v_pk_fma_f32 v[26:27], v[88:89], s[4:5], v[22:23] neg_lo:[1,0,0] neg_hi:[1,0,0]
	v_pk_fma_f32 v[24:25], v[20:21], s[4:5], v[22:23]
	v_pk_add_f32 v[90:91], v[62:63], v[86:87]
	v_pk_add_f32 v[30:31], v[62:63], v[86:87] neg_lo:[0,1] neg_hi:[0,1]
	v_mov_b32_e32 v27, v25
	v_pk_add_f32 v[32:33], v[26:27], v[56:57]
	v_mov_b32_e32 v27, v91
	v_mov_b32_e32 v91, v30
	;; [unrolled: 1-line block ×3, first 2 shown]
	v_pk_mul_f32 v[30:31], v[90:91], s[36:37]
	v_pk_add_f32 v[78:79], v[102:103], v[74:75]
	v_pk_fma_f32 v[36:37], v[26:27], s[10:11], v[30:31] neg_lo:[1,0,0] neg_hi:[1,0,0]
	v_pk_fma_f32 v[28:29], v[26:27], s[10:11], v[30:31]
	v_pk_add_f32 v[34:35], v[102:103], v[74:75] neg_lo:[0,1] neg_hi:[0,1]
	v_mov_b32_e32 v37, v29
	v_pk_add_f32 v[38:39], v[36:37], v[32:33]
	v_mov_b32_e32 v33, v79
	v_mov_b32_e32 v79, v34
	;; [unrolled: 1-line block ×3, first 2 shown]
	v_pk_mul_f32 v[36:37], v[78:79], s[26:27]
	v_pk_add_f32 v[82:83], v[68:69], v[70:71]
	v_pk_fma_f32 v[58:59], v[32:33], s[12:13], v[36:37] neg_lo:[1,0,0] neg_hi:[1,0,0]
	v_pk_fma_f32 v[34:35], v[32:33], s[12:13], v[36:37]
	v_pk_add_f32 v[84:85], v[68:69], v[70:71] neg_lo:[0,1] neg_hi:[0,1]
	v_mov_b32_e32 v59, v35
	v_pk_add_f32 v[62:63], v[58:59], v[38:39]
	v_mov_b32_e32 v39, v81
	v_mov_b32_e32 v81, v60
	;; [unrolled: 1-line block ×3, first 2 shown]
	v_pk_mul_f32 v[60:61], v[80:81], s[28:29]
	v_pk_mul_f32 v[110:111], v[90:91], s[44:45]
	v_pk_fma_f32 v[68:69], v[38:39], s[14:15], v[60:61] neg_lo:[1,0,0] neg_hi:[1,0,0]
	v_pk_fma_f32 v[58:59], v[38:39], s[14:15], v[60:61]
	v_pk_fma_f32 v[112:113], v[26:27], s[20:21], v[110:111] neg_lo:[1,0,0] neg_hi:[1,0,0]
	v_mov_b32_e32 v69, v59
	v_pk_add_f32 v[68:69], v[68:69], v[62:63]
	v_mov_b32_e32 v63, v83
	v_mov_b32_e32 v83, v84
	;; [unrolled: 1-line block ×3, first 2 shown]
	v_pk_mul_f32 v[70:71], v[82:83], s[34:35]
	v_pk_mul_f32 v[84:85], v[90:91], s[28:29]
	v_pk_fma_f32 v[72:73], v[62:63], s[18:19], v[70:71] neg_lo:[1,0,0] neg_hi:[1,0,0]
	v_pk_fma_f32 v[74:75], v[62:63], s[18:19], v[70:71]
	v_pk_fma_f32 v[86:87], v[26:27], s[14:15], v[84:85] neg_lo:[1,0,0] neg_hi:[1,0,0]
	v_mov_b32_e32 v73, v75
	v_pk_add_f32 v[68:69], v[72:73], v[68:69]
	ds_write2_b64 v53, v[66:67], v[68:69] offset1:2
	v_pk_mul_f32 v[66:67], v[76:77], s[36:37]
	v_pk_fma_f32 v[92:93], v[26:27], s[14:15], v[84:85]
	v_pk_fma_f32 v[68:69], v[88:89], s[10:11], v[66:67] neg_lo:[1,0,0] neg_hi:[1,0,0]
	v_pk_fma_f32 v[72:73], v[20:21], s[10:11], v[66:67]
	v_mov_b32_e32 v87, v93
	v_mov_b32_e32 v69, v73
	v_pk_add_f32 v[68:69], v[68:69], v[56:57]
	v_pk_fma_f32 v[114:115], v[26:27], s[20:21], v[110:111]
	v_pk_add_f32 v[68:69], v[86:87], v[68:69]
	v_pk_mul_f32 v[86:87], v[78:79], s[44:45]
	v_mov_b32_e32 v113, v115
	v_pk_fma_f32 v[94:95], v[32:33], s[20:21], v[86:87] neg_lo:[1,0,0] neg_hi:[1,0,0]
	v_pk_fma_f32 v[96:97], v[32:33], s[20:21], v[86:87]
	v_pk_mul_f32 v[128:129], v[90:91], s[42:43]
	v_mov_b32_e32 v95, v97
	v_pk_add_f32 v[68:69], v[94:95], v[68:69]
	v_pk_mul_f32 v[94:95], v[80:81], s[42:43]
	v_pk_fma_f32 v[130:131], v[26:27], s[22:23], v[128:129] neg_lo:[1,0,0] neg_hi:[1,0,0]
	v_pk_fma_f32 v[98:99], v[38:39], s[22:23], v[94:95] neg_lo:[1,0,0] neg_hi:[1,0,0]
	v_pk_fma_f32 v[100:101], v[38:39], s[22:23], v[94:95]
	v_pk_fma_f32 v[132:133], v[26:27], s[22:23], v[128:129]
	v_mov_b32_e32 v99, v101
	v_pk_add_f32 v[68:69], v[98:99], v[68:69]
	v_pk_mul_f32 v[98:99], v[82:83], s[38:39]
	v_mov_b32_e32 v131, v133
	v_pk_fma_f32 v[102:103], v[62:63], s[24:25], v[98:99] neg_lo:[1,0,0] neg_hi:[1,0,0]
	v_pk_fma_f32 v[104:105], v[62:63], s[24:25], v[98:99]
	v_pk_mul_f32 v[90:91], v[90:91], s[38:39]
	v_mov_b32_e32 v103, v105
	v_pk_add_f32 v[68:69], v[102:103], v[68:69]
	v_pk_mul_f32 v[102:103], v[76:77], s[26:27]
	v_pk_fma_f32 v[146:147], v[26:27], s[24:25], v[90:91] neg_lo:[1,0,0] neg_hi:[1,0,0]
	v_pk_fma_f32 v[106:107], v[88:89], s[12:13], v[102:103] neg_lo:[1,0,0] neg_hi:[1,0,0]
	v_pk_fma_f32 v[108:109], v[20:21], s[12:13], v[102:103]
	v_pk_fma_f32 v[148:149], v[26:27], s[24:25], v[90:91]
	v_mov_b32_e32 v107, v109
	v_pk_add_f32 v[106:107], v[106:107], v[56:57]
	v_mov_b32_e32 v147, v149
	v_pk_add_f32 v[106:107], v[112:113], v[106:107]
	v_pk_mul_f32 v[112:113], v[78:79], s[40:41]
	v_pk_fma_f32 v[66:67], v[20:21], s[10:11], v[66:67] neg_lo:[0,0,1] neg_hi:[0,0,1]
	v_pk_fma_f32 v[116:117], v[32:33], s[30:31], v[112:113] neg_lo:[1,0,0] neg_hi:[1,0,0]
	v_pk_fma_f32 v[118:119], v[32:33], s[30:31], v[112:113]
	v_mov_b32_e32 v73, v67
	v_mov_b32_e32 v117, v119
	v_pk_add_f32 v[106:107], v[116:117], v[106:107]
	v_pk_mul_f32 v[116:117], v[80:81], s[16:17]
	v_pk_add_f32 v[66:67], v[72:73], v[56:57]
	v_pk_fma_f32 v[120:121], v[38:39], s[4:5], v[116:117] neg_lo:[1,0,0] neg_hi:[1,0,0]
	v_pk_fma_f32 v[122:123], v[38:39], s[4:5], v[116:117]
	v_pk_fma_f32 v[72:73], v[26:27], s[14:15], v[84:85] neg_lo:[0,0,1] neg_hi:[0,0,1]
	v_mov_b32_e32 v121, v123
	v_pk_add_f32 v[106:107], v[120:121], v[106:107]
	v_pk_mul_f32 v[120:121], v[82:83], s[28:29]
	v_mov_b32_e32 v93, v73
	v_pk_fma_f32 v[124:125], v[62:63], s[14:15], v[120:121] neg_lo:[1,0,0] neg_hi:[1,0,0]
	v_pk_fma_f32 v[126:127], v[62:63], s[14:15], v[120:121]
	v_pk_fma_f32 v[72:73], v[32:33], s[20:21], v[86:87] neg_lo:[0,0,1] neg_hi:[0,0,1]
	v_mov_b32_e32 v125, v127
	v_pk_add_f32 v[106:107], v[124:125], v[106:107]
	ds_write2_b64 v53, v[68:69], v[106:107] offset0:4 offset1:6
	v_pk_mul_f32 v[68:69], v[76:77], s[28:29]
	v_pk_mul_f32 v[76:77], v[76:77], s[34:35]
	v_pk_fma_f32 v[106:107], v[88:89], s[14:15], v[68:69] neg_lo:[1,0,0] neg_hi:[1,0,0]
	v_pk_fma_f32 v[124:125], v[20:21], s[14:15], v[68:69]
	v_pk_fma_f32 v[88:89], v[88:89], s[18:19], v[76:77] neg_lo:[1,0,0] neg_hi:[1,0,0]
	v_mov_b32_e32 v107, v125
	v_pk_add_f32 v[106:107], v[106:107], v[56:57]
	v_pk_fma_f32 v[68:69], v[20:21], s[14:15], v[68:69] neg_lo:[0,0,1] neg_hi:[0,0,1]
	v_pk_add_f32 v[106:107], v[130:131], v[106:107]
	v_pk_mul_f32 v[130:131], v[78:79], s[16:17]
	v_pk_mul_f32 v[78:79], v[78:79], s[28:29]
	v_pk_fma_f32 v[134:135], v[32:33], s[4:5], v[130:131] neg_lo:[1,0,0] neg_hi:[1,0,0]
	v_pk_fma_f32 v[136:137], v[32:33], s[4:5], v[130:131]
	v_pk_fma_f32 v[150:151], v[32:33], s[14:15], v[78:79]
	v_mov_b32_e32 v135, v137
	v_pk_add_f32 v[106:107], v[134:135], v[106:107]
	v_pk_mul_f32 v[134:135], v[80:81], s[34:35]
	v_pk_mul_f32 v[80:81], v[80:81], s[40:41]
	v_pk_fma_f32 v[138:139], v[38:39], s[18:19], v[134:135] neg_lo:[1,0,0] neg_hi:[1,0,0]
	v_pk_fma_f32 v[140:141], v[38:39], s[18:19], v[134:135]
	v_pk_fma_f32 v[152:153], v[38:39], s[30:31], v[80:81]
	v_mov_b32_e32 v139, v141
	v_pk_add_f32 v[106:107], v[138:139], v[106:107]
	v_pk_mul_f32 v[138:139], v[82:83], s[40:41]
	v_pk_mul_f32 v[82:83], v[82:83], s[26:27]
	v_pk_fma_f32 v[142:143], v[62:63], s[30:31], v[138:139] neg_lo:[1,0,0] neg_hi:[1,0,0]
	v_pk_fma_f32 v[144:145], v[62:63], s[30:31], v[138:139]
	v_pk_fma_f32 v[154:155], v[62:63], s[12:13], v[82:83]
	v_mov_b32_e32 v143, v145
	v_pk_add_f32 v[106:107], v[142:143], v[106:107]
	v_pk_fma_f32 v[142:143], v[20:21], s[18:19], v[76:77]
	v_pk_fma_f32 v[76:77], v[20:21], s[18:19], v[76:77] neg_lo:[0,0,1] neg_hi:[0,0,1]
	v_mov_b32_e32 v89, v143
	v_pk_add_f32 v[88:89], v[88:89], v[56:57]
	v_mov_b32_e32 v143, v77
	v_pk_add_f32 v[88:89], v[146:147], v[88:89]
	v_pk_fma_f32 v[146:147], v[32:33], s[14:15], v[78:79] neg_lo:[1,0,0] neg_hi:[1,0,0]
	v_pk_fma_f32 v[78:79], v[32:33], s[14:15], v[78:79] neg_lo:[0,0,1] neg_hi:[0,0,1]
	v_mov_b32_e32 v147, v151
	v_pk_add_f32 v[88:89], v[146:147], v[88:89]
	v_pk_fma_f32 v[146:147], v[38:39], s[30:31], v[80:81] neg_lo:[1,0,0] neg_hi:[1,0,0]
	v_mov_b32_e32 v151, v79
	v_mov_b32_e32 v147, v153
	v_pk_fma_f32 v[78:79], v[38:39], s[30:31], v[80:81] neg_lo:[0,0,1] neg_hi:[0,0,1]
	v_pk_add_f32 v[88:89], v[146:147], v[88:89]
	v_pk_fma_f32 v[146:147], v[62:63], s[12:13], v[82:83] neg_lo:[1,0,0] neg_hi:[1,0,0]
	v_pk_fma_f32 v[76:77], v[26:27], s[24:25], v[90:91] neg_lo:[0,0,1] neg_hi:[0,0,1]
	v_mov_b32_e32 v153, v79
	v_pk_fma_f32 v[78:79], v[62:63], s[12:13], v[82:83] neg_lo:[0,0,1] neg_hi:[0,0,1]
	v_mov_b32_e32 v125, v69
	;; [unrolled: 2-line block ×3, first 2 shown]
	v_mov_b32_e32 v149, v77
	v_pk_add_f32 v[76:77], v[142:143], v[56:57]
	v_mov_b32_e32 v155, v79
	v_mov_b32_e32 v133, v69
	v_pk_add_f32 v[68:69], v[124:125], v[56:57]
	v_pk_fma_f32 v[78:79], v[32:33], s[4:5], v[130:131] neg_lo:[0,0,1] neg_hi:[0,0,1]
	v_pk_add_f32 v[76:77], v[148:149], v[76:77]
	v_pk_add_f32 v[68:69], v[132:133], v[68:69]
	v_mov_b32_e32 v137, v79
	v_pk_fma_f32 v[78:79], v[38:39], s[18:19], v[134:135] neg_lo:[0,0,1] neg_hi:[0,0,1]
	v_pk_add_f32 v[76:77], v[150:151], v[76:77]
	v_pk_add_f32 v[68:69], v[136:137], v[68:69]
	v_mov_b32_e32 v141, v79
	;; [unrolled: 4-line block ×3, first 2 shown]
	v_pk_add_f32 v[76:77], v[154:155], v[76:77]
	v_pk_add_f32 v[68:69], v[144:145], v[68:69]
	ds_write2_b64 v53, v[76:77], v[68:69] offset0:12 offset1:14
	v_pk_fma_f32 v[68:69], v[20:21], s[12:13], v[102:103] neg_lo:[0,0,1] neg_hi:[0,0,1]
	v_pk_fma_f32 v[20:21], v[20:21], s[4:5], v[22:23] neg_lo:[0,0,1] neg_hi:[0,0,1]
	v_mov_b32_e32 v109, v69
	v_pk_fma_f32 v[68:69], v[26:27], s[20:21], v[110:111] neg_lo:[0,0,1] neg_hi:[0,0,1]
	v_mov_b32_e32 v25, v21
	;; [unrolled: 2-line block ×3, first 2 shown]
	v_pk_add_f32 v[68:69], v[108:109], v[56:57]
	v_pk_fma_f32 v[76:77], v[32:33], s[30:31], v[112:113] neg_lo:[0,0,1] neg_hi:[0,0,1]
	v_pk_add_f32 v[20:21], v[24:25], v[56:57]
	v_mov_b32_e32 v29, v23
	v_pk_fma_f32 v[22:23], v[32:33], s[12:13], v[36:37] neg_lo:[0,0,1] neg_hi:[0,0,1]
	v_pk_add_f32 v[68:69], v[114:115], v[68:69]
	v_mov_b32_e32 v119, v77
	;; [unrolled: 3-line block ×8, first 2 shown]
	v_pk_add_f32 v[66:67], v[100:101], v[66:67]
	v_mov_b32_e32 v105, v73
	v_pk_add_f32 v[20:21], v[58:59], v[20:21]
	v_mov_b32_e32 v75, v23
	v_pk_add_f32 v[88:89], v[146:147], v[88:89]
	v_pk_add_f32 v[68:69], v[126:127], v[68:69]
	;; [unrolled: 1-line block ×4, first 2 shown]
	ds_write2_b64 v53, v[106:107], v[88:89] offset0:8 offset1:10
	ds_write2_b64 v53, v[68:69], v[66:67] offset0:16 offset1:18
	ds_write_b64 v53, v[20:21] offset:160
	s_and_saveexec_b64 s[46:47], s[0:1]
	s_cbranch_execz .LBB0_16
; %bb.15:
	v_and_b32_e32 v53, 1, v46
	v_mul_u32_u24_e32 v20, 10, v53
	v_lshlrev_b32_e32 v56, 3, v20
	global_load_dwordx4 v[20:23], v56, s[8:9]
	global_load_dwordx4 v[24:27], v56, s[8:9] offset:64
	global_load_dwordx4 v[28:31], v56, s[8:9] offset:16
	global_load_dwordx4 v[32:35], v56, s[8:9] offset:48
	global_load_dwordx4 v[36:39], v56, s[8:9] offset:32
	v_mov_b32_e32 v56, v1
	v_mov_b32_e32 v58, v19
	;; [unrolled: 1-line block ×7, first 2 shown]
	v_lshrrev_b32_e32 v5, 1, v46
	v_mov_b32_e32 v68, v11
	v_mov_b32_e32 v74, v7
	v_mul_lo_u32 v5, v5, 22
	v_or_b32_e32 v5, v5, v53
	v_lshlrev_b32_e32 v5, 3, v5
	v_add3_u32 v53, 0, v5, v49
	s_waitcnt vmcnt(4)
	v_pk_mul_f32 v[76:77], v[0:1], v[20:21] op_sel:[0,1] op_sel_hi:[1,0]
	v_pk_mul_f32 v[56:57], v[56:57], v[20:21] op_sel:[0,1] op_sel_hi:[1,0]
	s_waitcnt vmcnt(3)
	v_pk_mul_f32 v[58:59], v[58:59], v[26:27] op_sel_hi:[0,1]
	v_pk_mul_f32 v[78:79], v[2:3], v[22:23] op_sel:[1,0]
	v_pk_mul_f32 v[60:61], v[60:61], v[24:25] op_sel_hi:[0,1]
	s_waitcnt vmcnt(1)
	v_pk_mul_f32 v[66:67], v[66:67], v[34:35] op_sel_hi:[0,1]
	v_mov_b32_e32 v76, v77
	v_pk_mul_f32 v[62:63], v[62:63], v[28:29] op_sel_hi:[0,1]
	v_pk_mul_f32 v[70:71], v[70:71], v[32:33] op_sel_hi:[0,1]
	v_pk_fma_f32 v[56:57], v[0:1], v[20:21], v[56:57] neg_lo:[0,0,1] neg_hi:[0,0,1]
	v_pk_fma_f32 v[80:81], v[18:19], v[26:27], v[58:59] op_sel:[0,0,1] op_sel_hi:[0,1,0] neg_lo:[0,0,1] neg_hi:[0,0,1]
	v_pk_fma_f32 v[18:19], v[18:19], v[26:27], v[58:59] op_sel:[0,0,1] op_sel_hi:[0,1,0]
	v_pk_fma_f32 v[26:27], v[16:17], v[24:25], v[60:61] op_sel:[0,0,1] op_sel_hi:[1,1,0] neg_lo:[0,0,1] neg_hi:[0,0,1]
	v_pk_fma_f32 v[16:17], v[16:17], v[24:25], v[60:61] op_sel:[0,0,1] op_sel_hi:[0,1,0]
	;; [unrolled: 2-line block ×4, first 2 shown]
	v_pk_fma_f32 v[20:21], v[0:1], v[20:21], v[76:77] op_sel:[0,1,0] op_sel_hi:[1,0,1]
	v_pk_fma_f32 v[34:35], v[8:9], v[28:29], v[62:63] op_sel:[0,0,1] op_sel_hi:[1,1,0] neg_lo:[0,0,1] neg_hi:[0,0,1]
	v_pk_fma_f32 v[8:9], v[8:9], v[28:29], v[62:63] op_sel:[0,0,1] op_sel_hi:[0,1,0]
	v_pk_fma_f32 v[28:29], v[12:13], v[32:33], v[70:71] op_sel:[0,0,1] op_sel_hi:[1,1,0] neg_lo:[0,0,1] neg_hi:[0,0,1]
	v_pk_fma_f32 v[12:13], v[12:13], v[32:33], v[70:71] op_sel:[0,0,1] op_sel_hi:[0,1,0]
	v_pk_add_f32 v[58:59], v[56:57], v[80:81] neg_lo:[0,1] neg_hi:[0,1]
	v_mov_b32_e32 v23, v15
	v_pk_add_f32 v[14:15], v[56:57], v[80:81]
	v_mov_b32_e32 v57, v20
	v_pk_mul_f32 v[68:69], v[68:69], v[30:31] op_sel_hi:[0,1]
	s_waitcnt vmcnt(0)
	v_pk_mul_f32 v[74:75], v[74:75], v[38:39] op_sel_hi:[0,1]
	v_mov_b32_e32 v25, v3
	v_mov_b32_e32 v29, v13
	v_pk_add_f32 v[12:13], v[54:55], v[56:57]
	v_pk_mul_f32 v[72:73], v[72:73], v[36:37] op_sel_hi:[0,1]
	v_pk_fma_f32 v[32:33], v[10:11], v[30:31], v[68:69] op_sel:[0,0,1] op_sel_hi:[1,1,0] neg_lo:[0,0,1] neg_hi:[0,0,1]
	v_pk_fma_f32 v[10:11], v[10:11], v[30:31], v[68:69] op_sel:[0,0,1] op_sel_hi:[0,1,0]
	v_pk_fma_f32 v[30:31], v[6:7], v[38:39], v[74:75] op_sel:[0,0,1] op_sel_hi:[1,1,0] neg_lo:[0,0,1] neg_hi:[0,0,1]
	v_pk_fma_f32 v[6:7], v[6:7], v[38:39], v[74:75] op_sel:[0,0,1] op_sel_hi:[0,1,0]
	v_mov_b32_e32 v27, v17
	v_mov_b32_e32 v35, v9
	v_pk_add_f32 v[12:13], v[12:13], v[24:25]
	v_pk_fma_f32 v[38:39], v[4:5], v[36:37], v[72:73] op_sel:[0,0,1] op_sel_hi:[1,1,0] neg_lo:[0,0,1] neg_hi:[0,0,1]
	v_pk_fma_f32 v[4:5], v[4:5], v[36:37], v[72:73] op_sel:[0,0,1] op_sel_hi:[0,1,0]
	v_mov_b32_e32 v33, v11
	v_mov_b32_e32 v31, v7
	v_pk_add_f32 v[16:17], v[24:25], v[26:27] neg_lo:[0,1] neg_hi:[0,1]
	v_pk_add_f32 v[6:7], v[24:25], v[26:27]
	v_pk_add_f32 v[24:25], v[12:13], v[34:35]
	v_mov_b32_e32 v39, v5
	v_pk_add_f32 v[24:25], v[24:25], v[32:33]
	v_mov_b32_e32 v8, v19
	v_mov_b32_e32 v9, v20
	v_pk_add_f32 v[24:25], v[24:25], v[38:39]
	v_pk_add_f32 v[68:69], v[20:21], v[8:9] neg_lo:[0,1] neg_hi:[0,1]
	v_mov_b32_e32 v15, v58
	v_pk_add_f32 v[8:9], v[8:9], v[18:19]
	v_pk_add_f32 v[24:25], v[24:25], v[30:31]
	v_mov_b32_e32 v37, v19
	v_pk_mul_f32 v[10:11], v[14:15], s[16:17]
	v_mov_b32_e32 v18, v6
	v_mov_b32_e32 v8, v68
	v_pk_add_f32 v[24:25], v[24:25], v[28:29]
	v_mov_b32_e32 v19, v16
	v_pk_add_f32 v[60:61], v[34:35], v[22:23] neg_lo:[0,1] neg_hi:[0,1]
	v_pk_add_f32 v[4:5], v[34:35], v[22:23]
	v_pk_fma_f32 v[20:21], v[68:69], s[4:5], v[10:11] neg_lo:[1,0,0] neg_hi:[1,0,0]
	v_pk_fma_f32 v[12:13], v[8:9], s[4:5], v[10:11]
	v_pk_add_f32 v[22:23], v[24:25], v[22:23]
	v_pk_mul_f32 v[24:25], v[18:19], s[36:37]
	v_mov_b32_e32 v6, v17
	v_mov_b32_e32 v21, v13
	v_pk_add_f32 v[22:23], v[22:23], v[26:27]
	v_pk_fma_f32 v[16:17], v[6:7], s[10:11], v[24:25] neg_lo:[1,0,0] neg_hi:[1,0,0]
	v_pk_fma_f32 v[26:27], v[6:7], s[10:11], v[24:25]
	v_pk_add_f32 v[20:21], v[54:55], v[20:21]
	v_mov_b32_e32 v17, v27
	v_pk_add_f32 v[16:17], v[16:17], v[20:21]
	v_mov_b32_e32 v20, v4
	v_mov_b32_e32 v21, v60
	v_pk_add_f32 v[62:63], v[32:33], v[28:29] neg_lo:[0,1] neg_hi:[0,1]
	v_pk_add_f32 v[2:3], v[32:33], v[28:29]
	v_pk_mul_f32 v[28:29], v[20:21], s[26:27]
	v_mov_b32_e32 v4, v61
	v_pk_add_f32 v[66:67], v[38:39], v[30:31] neg_lo:[0,1] neg_hi:[0,1]
	v_pk_add_f32 v[0:1], v[38:39], v[30:31]
	v_pk_fma_f32 v[30:31], v[4:5], s[12:13], v[28:29] neg_lo:[1,0,0] neg_hi:[1,0,0]
	v_pk_fma_f32 v[32:33], v[4:5], s[12:13], v[28:29]
	v_mov_b32_e32 v36, v80
	v_mov_b32_e32 v31, v33
	v_pk_add_f32 v[16:17], v[30:31], v[16:17]
	v_mov_b32_e32 v30, v2
	v_mov_b32_e32 v31, v62
	v_pk_mul_f32 v[34:35], v[30:31], s[28:29]
	v_mov_b32_e32 v2, v63
	v_pk_add_f32 v[22:23], v[22:23], v[36:37]
	v_pk_fma_f32 v[36:37], v[2:3], s[14:15], v[34:35] neg_lo:[1,0,0] neg_hi:[1,0,0]
	v_pk_fma_f32 v[38:39], v[2:3], s[14:15], v[34:35]
	v_pk_mul_f32 v[62:63], v[18:19], s[28:29]
	v_mov_b32_e32 v37, v39
	v_pk_add_f32 v[16:17], v[36:37], v[16:17]
	v_mov_b32_e32 v36, v0
	v_mov_b32_e32 v37, v66
	v_pk_mul_f32 v[56:57], v[36:37], s[34:35]
	v_mov_b32_e32 v0, v67
	v_pk_fma_f32 v[58:59], v[0:1], s[18:19], v[56:57] neg_lo:[1,0,0] neg_hi:[1,0,0]
	v_pk_fma_f32 v[60:61], v[0:1], s[18:19], v[56:57]
	v_pk_fma_f32 v[66:67], v[6:7], s[14:15], v[62:63] neg_lo:[1,0,0] neg_hi:[1,0,0]
	v_mov_b32_e32 v59, v61
	v_pk_add_f32 v[16:17], v[58:59], v[16:17]
	ds_write2_b64 v53, v[22:23], v[16:17] offset1:2
	v_pk_mul_f32 v[16:17], v[14:15], s[36:37]
	v_pk_fma_f32 v[70:71], v[6:7], s[14:15], v[62:63]
	v_pk_fma_f32 v[22:23], v[68:69], s[10:11], v[16:17] neg_lo:[1,0,0] neg_hi:[1,0,0]
	v_pk_fma_f32 v[58:59], v[8:9], s[10:11], v[16:17]
	v_mov_b32_e32 v67, v71
	v_mov_b32_e32 v23, v59
	v_pk_add_f32 v[22:23], v[54:55], v[22:23]
	v_pk_mul_f32 v[88:89], v[18:19], s[44:45]
	v_pk_add_f32 v[22:23], v[66:67], v[22:23]
	v_pk_mul_f32 v[66:67], v[20:21], s[44:45]
	v_pk_fma_f32 v[90:91], v[6:7], s[20:21], v[88:89] neg_lo:[1,0,0] neg_hi:[1,0,0]
	v_pk_fma_f32 v[72:73], v[4:5], s[20:21], v[66:67] neg_lo:[1,0,0] neg_hi:[1,0,0]
	v_pk_fma_f32 v[74:75], v[4:5], s[20:21], v[66:67]
	v_pk_fma_f32 v[92:93], v[6:7], s[20:21], v[88:89]
	v_mov_b32_e32 v73, v75
	v_pk_add_f32 v[22:23], v[72:73], v[22:23]
	v_pk_mul_f32 v[72:73], v[30:31], s[42:43]
	v_mov_b32_e32 v91, v93
	v_pk_fma_f32 v[76:77], v[2:3], s[22:23], v[72:73] neg_lo:[1,0,0] neg_hi:[1,0,0]
	v_pk_fma_f32 v[78:79], v[2:3], s[22:23], v[72:73]
	v_pk_mul_f32 v[106:107], v[18:19], s[42:43]
	v_mov_b32_e32 v77, v79
	v_pk_add_f32 v[22:23], v[76:77], v[22:23]
	v_pk_mul_f32 v[76:77], v[36:37], s[38:39]
	v_pk_fma_f32 v[108:109], v[6:7], s[22:23], v[106:107] neg_lo:[1,0,0] neg_hi:[1,0,0]
	v_pk_fma_f32 v[80:81], v[0:1], s[24:25], v[76:77] neg_lo:[1,0,0] neg_hi:[1,0,0]
	v_pk_fma_f32 v[82:83], v[0:1], s[24:25], v[76:77]
	v_pk_fma_f32 v[110:111], v[6:7], s[22:23], v[106:107]
	v_mov_b32_e32 v81, v83
	v_pk_add_f32 v[22:23], v[80:81], v[22:23]
	v_pk_mul_f32 v[80:81], v[14:15], s[26:27]
	v_mov_b32_e32 v109, v111
	v_pk_fma_f32 v[84:85], v[68:69], s[12:13], v[80:81] neg_lo:[1,0,0] neg_hi:[1,0,0]
	v_pk_fma_f32 v[86:87], v[8:9], s[12:13], v[80:81]
	v_pk_mul_f32 v[18:19], v[18:19], s[38:39]
	v_mov_b32_e32 v85, v87
	v_pk_add_f32 v[84:85], v[54:55], v[84:85]
	v_pk_fma_f32 v[124:125], v[6:7], s[24:25], v[18:19] neg_lo:[1,0,0] neg_hi:[1,0,0]
	v_pk_add_f32 v[84:85], v[90:91], v[84:85]
	v_pk_mul_f32 v[90:91], v[20:21], s[40:41]
	v_pk_fma_f32 v[126:127], v[6:7], s[24:25], v[18:19]
	v_pk_fma_f32 v[94:95], v[4:5], s[30:31], v[90:91] neg_lo:[1,0,0] neg_hi:[1,0,0]
	v_pk_fma_f32 v[96:97], v[4:5], s[30:31], v[90:91]
	v_mov_b32_e32 v125, v127
	v_mov_b32_e32 v95, v97
	v_pk_add_f32 v[84:85], v[94:95], v[84:85]
	v_pk_mul_f32 v[94:95], v[30:31], s[16:17]
	v_pk_fma_f32 v[18:19], v[6:7], s[24:25], v[18:19] neg_lo:[0,0,1] neg_hi:[0,0,1]
	v_pk_fma_f32 v[98:99], v[2:3], s[4:5], v[94:95] neg_lo:[1,0,0] neg_hi:[1,0,0]
	v_pk_fma_f32 v[100:101], v[2:3], s[4:5], v[94:95]
	v_mov_b32_e32 v127, v19
	v_mov_b32_e32 v99, v101
	v_pk_add_f32 v[84:85], v[98:99], v[84:85]
	v_pk_mul_f32 v[98:99], v[36:37], s[28:29]
	v_pk_fma_f32 v[16:17], v[8:9], s[10:11], v[16:17] neg_lo:[0,0,1] neg_hi:[0,0,1]
	v_pk_fma_f32 v[102:103], v[0:1], s[14:15], v[98:99] neg_lo:[1,0,0] neg_hi:[1,0,0]
	v_pk_fma_f32 v[104:105], v[0:1], s[14:15], v[98:99]
	v_mov_b32_e32 v59, v17
	v_mov_b32_e32 v103, v105
	v_pk_add_f32 v[84:85], v[102:103], v[84:85]
	ds_write2_b64 v53, v[22:23], v[84:85] offset0:4 offset1:6
	v_pk_mul_f32 v[22:23], v[14:15], s[28:29]
	v_pk_mul_f32 v[14:15], v[14:15], s[34:35]
	v_pk_fma_f32 v[84:85], v[68:69], s[14:15], v[22:23] neg_lo:[1,0,0] neg_hi:[1,0,0]
	v_pk_fma_f32 v[102:103], v[8:9], s[14:15], v[22:23]
	v_pk_fma_f32 v[68:69], v[68:69], s[18:19], v[14:15] neg_lo:[1,0,0] neg_hi:[1,0,0]
	v_mov_b32_e32 v85, v103
	v_pk_add_f32 v[84:85], v[54:55], v[84:85]
	v_pk_add_f32 v[16:17], v[54:55], v[58:59]
	;; [unrolled: 1-line block ×3, first 2 shown]
	v_pk_mul_f32 v[108:109], v[20:21], s[16:17]
	v_pk_mul_f32 v[20:21], v[20:21], s[28:29]
	v_pk_fma_f32 v[112:113], v[4:5], s[4:5], v[108:109] neg_lo:[1,0,0] neg_hi:[1,0,0]
	v_pk_fma_f32 v[114:115], v[4:5], s[4:5], v[108:109]
	v_pk_fma_f32 v[128:129], v[4:5], s[14:15], v[20:21]
	v_mov_b32_e32 v113, v115
	v_pk_add_f32 v[84:85], v[112:113], v[84:85]
	v_pk_mul_f32 v[112:113], v[30:31], s[34:35]
	v_pk_mul_f32 v[30:31], v[30:31], s[40:41]
	v_pk_fma_f32 v[116:117], v[2:3], s[18:19], v[112:113] neg_lo:[1,0,0] neg_hi:[1,0,0]
	v_pk_fma_f32 v[118:119], v[2:3], s[18:19], v[112:113]
	v_pk_fma_f32 v[130:131], v[2:3], s[30:31], v[30:31]
	v_mov_b32_e32 v117, v119
	v_pk_add_f32 v[84:85], v[116:117], v[84:85]
	v_pk_mul_f32 v[116:117], v[36:37], s[40:41]
	v_pk_fma_f32 v[18:19], v[4:5], s[14:15], v[20:21] neg_lo:[0,0,1] neg_hi:[0,0,1]
	v_pk_fma_f32 v[120:121], v[0:1], s[30:31], v[116:117] neg_lo:[1,0,0] neg_hi:[1,0,0]
	v_pk_fma_f32 v[122:123], v[0:1], s[30:31], v[116:117]
	v_pk_mul_f32 v[36:37], v[36:37], s[26:27]
	v_mov_b32_e32 v121, v123
	v_pk_add_f32 v[84:85], v[120:121], v[84:85]
	v_pk_fma_f32 v[120:121], v[8:9], s[18:19], v[14:15]
	v_pk_fma_f32 v[132:133], v[0:1], s[12:13], v[36:37]
	v_mov_b32_e32 v69, v121
	v_pk_add_f32 v[68:69], v[54:55], v[68:69]
	v_pk_fma_f32 v[14:15], v[8:9], s[18:19], v[14:15] neg_lo:[0,0,1] neg_hi:[0,0,1]
	v_pk_add_f32 v[68:69], v[124:125], v[68:69]
	v_pk_fma_f32 v[124:125], v[4:5], s[14:15], v[20:21] neg_lo:[1,0,0] neg_hi:[1,0,0]
	v_mov_b32_e32 v121, v15
	v_mov_b32_e32 v125, v129
	v_pk_add_f32 v[68:69], v[124:125], v[68:69]
	v_pk_fma_f32 v[124:125], v[2:3], s[30:31], v[30:31] neg_lo:[1,0,0] neg_hi:[1,0,0]
	v_mov_b32_e32 v129, v19
	v_mov_b32_e32 v125, v131
	v_pk_fma_f32 v[18:19], v[2:3], s[30:31], v[30:31] neg_lo:[0,0,1] neg_hi:[0,0,1]
	v_pk_add_f32 v[68:69], v[124:125], v[68:69]
	v_pk_fma_f32 v[124:125], v[0:1], s[12:13], v[36:37] neg_lo:[1,0,0] neg_hi:[1,0,0]
	v_mov_b32_e32 v131, v19
	v_pk_fma_f32 v[18:19], v[0:1], s[12:13], v[36:37] neg_lo:[0,0,1] neg_hi:[0,0,1]
	v_mov_b32_e32 v125, v133
	v_mov_b32_e32 v133, v19
	v_pk_fma_f32 v[18:19], v[8:9], s[14:15], v[22:23] neg_lo:[0,0,1] neg_hi:[0,0,1]
	v_pk_fma_f32 v[20:21], v[6:7], s[22:23], v[106:107] neg_lo:[0,0,1] neg_hi:[0,0,1]
	v_mov_b32_e32 v103, v19
	v_pk_add_f32 v[14:15], v[54:55], v[120:121]
	v_pk_add_f32 v[18:19], v[54:55], v[102:103]
	v_mov_b32_e32 v111, v21
	v_pk_fma_f32 v[20:21], v[4:5], s[4:5], v[108:109] neg_lo:[0,0,1] neg_hi:[0,0,1]
	v_pk_add_f32 v[14:15], v[126:127], v[14:15]
	v_pk_add_f32 v[18:19], v[110:111], v[18:19]
	v_mov_b32_e32 v115, v21
	v_pk_fma_f32 v[20:21], v[2:3], s[18:19], v[112:113] neg_lo:[0,0,1] neg_hi:[0,0,1]
	;; [unrolled: 4-line block ×3, first 2 shown]
	v_pk_add_f32 v[14:15], v[130:131], v[14:15]
	v_pk_add_f32 v[18:19], v[118:119], v[18:19]
	v_mov_b32_e32 v123, v21
	v_pk_add_f32 v[14:15], v[132:133], v[14:15]
	v_pk_add_f32 v[18:19], v[122:123], v[18:19]
	ds_write2_b64 v53, v[14:15], v[18:19] offset0:12 offset1:14
	v_pk_fma_f32 v[18:19], v[6:7], s[20:21], v[88:89] neg_lo:[0,0,1] neg_hi:[0,0,1]
	v_pk_fma_f32 v[14:15], v[8:9], s[12:13], v[80:81] neg_lo:[0,0,1] neg_hi:[0,0,1]
	v_mov_b32_e32 v93, v19
	v_pk_fma_f32 v[18:19], v[4:5], s[30:31], v[90:91] neg_lo:[0,0,1] neg_hi:[0,0,1]
	v_pk_fma_f32 v[8:9], v[8:9], s[4:5], v[10:11] neg_lo:[0,0,1] neg_hi:[0,0,1]
	v_mov_b32_e32 v97, v19
	v_pk_fma_f32 v[18:19], v[2:3], s[4:5], v[94:95] neg_lo:[0,0,1] neg_hi:[0,0,1]
	v_mov_b32_e32 v87, v15
	v_mov_b32_e32 v101, v19
	v_pk_fma_f32 v[18:19], v[0:1], s[14:15], v[98:99] neg_lo:[0,0,1] neg_hi:[0,0,1]
	v_mov_b32_e32 v13, v9
	v_mov_b32_e32 v105, v19
	v_pk_fma_f32 v[18:19], v[6:7], s[14:15], v[62:63] neg_lo:[0,0,1] neg_hi:[0,0,1]
	v_pk_fma_f32 v[6:7], v[6:7], s[10:11], v[24:25] neg_lo:[0,0,1] neg_hi:[0,0,1]
	v_pk_add_f32 v[14:15], v[54:55], v[86:87]
	v_mov_b32_e32 v71, v19
	v_pk_fma_f32 v[18:19], v[4:5], s[20:21], v[66:67] neg_lo:[0,0,1] neg_hi:[0,0,1]
	v_pk_add_f32 v[8:9], v[54:55], v[12:13]
	v_mov_b32_e32 v27, v7
	v_pk_fma_f32 v[4:5], v[4:5], s[12:13], v[28:29] neg_lo:[0,0,1] neg_hi:[0,0,1]
	v_pk_add_f32 v[14:15], v[92:93], v[14:15]
	v_pk_add_f32 v[16:17], v[70:71], v[16:17]
	v_mov_b32_e32 v75, v19
	v_pk_fma_f32 v[18:19], v[2:3], s[22:23], v[72:73] neg_lo:[0,0,1] neg_hi:[0,0,1]
	v_pk_add_f32 v[6:7], v[26:27], v[8:9]
	v_mov_b32_e32 v33, v5
	v_pk_fma_f32 v[2:3], v[2:3], s[14:15], v[34:35] neg_lo:[0,0,1] neg_hi:[0,0,1]
	v_pk_add_f32 v[14:15], v[96:97], v[14:15]
	;; [unrolled: 7-line block ×3, first 2 shown]
	v_pk_add_f32 v[16:17], v[78:79], v[16:17]
	v_mov_b32_e32 v83, v19
	v_pk_add_f32 v[2:3], v[38:39], v[4:5]
	v_mov_b32_e32 v61, v1
	v_pk_add_f32 v[68:69], v[124:125], v[68:69]
	v_pk_add_f32 v[14:15], v[104:105], v[14:15]
	v_pk_add_f32 v[16:17], v[82:83], v[16:17]
	v_pk_add_f32 v[0:1], v[60:61], v[2:3]
	ds_write2_b64 v53, v[84:85], v[68:69] offset0:8 offset1:10
	ds_write2_b64 v53, v[14:15], v[16:17] offset0:16 offset1:18
	ds_write_b64 v53, v[0:1] offset:160
.LBB0_16:
	s_or_b64 exec, exec, s[46:47]
	v_lshrrev_b16_e32 v0, 1, v44
	v_and_b32_e32 v0, 0x7f, v0
	v_mul_lo_u16_e32 v0, 0xbb, v0
	v_lshrrev_b16_e32 v7, 11, v0
	v_mul_lo_u16_e32 v0, 22, v7
	v_sub_u16_e32 v53, v44, v0
	v_mov_b32_e32 v0, 6
	v_mul_u32_u24_sdwa v1, v53, v0 dst_sel:DWORD dst_unused:UNUSED_PAD src0_sel:BYTE_0 src1_sel:DWORD
	v_lshlrev_b32_e32 v58, 3, v1
	v_lshrrev_b16_e32 v1, 1, v46
	v_and_b32_e32 v1, 0x7f, v1
	v_mul_lo_u16_e32 v1, 0xbb, v1
	v_lshrrev_b16_e32 v59, 11, v1
	v_mul_lo_u16_e32 v1, 22, v59
	v_sub_u16_e32 v60, v46, v1
	v_mul_u32_u24_sdwa v0, v60, v0 dst_sel:DWORD dst_unused:UNUSED_PAD src0_sel:BYTE_0 src1_sel:DWORD
	s_waitcnt lgkmcnt(0)
	s_barrier
	global_load_dwordx4 v[8:11], v58, s[8:9] offset:176
	v_lshlrev_b32_e32 v0, 3, v0
	global_load_dwordx4 v[12:15], v58, s[8:9] offset:192
	global_load_dwordx4 v[16:19], v0, s[8:9] offset:160
	;; [unrolled: 1-line block ×4, first 2 shown]
	v_lshlrev_b32_e32 v0, 3, v52
	v_lshlrev_b32_e32 v1, 3, v50
	;; [unrolled: 1-line block ×3, first 2 shown]
	v_add_u32_e32 v92, 0x1000, v47
	s_movk_i32 s0, 0x4d0
	v_mov_b32_e32 v61, 3
	ds_read_b64 v[2:3], v65
	v_add3_u32 v6, 0, v51, v49
	v_add_u32_e32 v51, 0x1400, v47
	v_add_u32_e32 v93, 0x600, v47
	;; [unrolled: 1-line block ×3, first 2 shown]
	v_add3_u32 v95, 0, v0, v49
	v_add3_u32 v96, 0, v1, v49
	;; [unrolled: 1-line block ×3, first 2 shown]
	ds_read2_b64 v[28:31], v92 offset0:27 offset1:104
	ds_read2_b64 v[32:35], v51 offset0:53 offset1:130
	;; [unrolled: 1-line block ×4, first 2 shown]
	ds_read_b64 v[4:5], v96
	ds_read_b64 v[62:63], v97
	;; [unrolled: 1-line block ×4, first 2 shown]
	ds_read_b64 v[68:69], v47 offset:8008
	v_mad_u32_u24 v74, v59, s0, 0
	v_lshlrev_b32_sdwa v53, v61, v53 dst_sel:DWORD dst_unused:UNUSED_PAD src0_sel:DWORD src1_sel:BYTE_0
	v_lshlrev_b32_sdwa v75, v61, v60 dst_sel:DWORD dst_unused:UNUSED_PAD src0_sel:DWORD src1_sel:BYTE_0
	global_load_dwordx4 v[58:61], v58, s[8:9] offset:160
	v_mad_u32_u24 v7, v7, s0, 0
	v_add3_u32 v7, v7, v53, v49
	v_add3_u32 v49, v74, v75, v49
	s_waitcnt lgkmcnt(7)
	v_mov_b32_e32 v71, v32
	s_waitcnt lgkmcnt(5)
	v_mov_b32_e32 v72, v55
	v_mov_b32_e32 v73, v28
	;; [unrolled: 1-line block ×3, first 2 shown]
	s_mov_b32 s4, 0x3eae86e6
	s_mov_b32 s5, 0xbf08b237
	;; [unrolled: 1-line block ×10, first 2 shown]
	s_waitcnt lgkmcnt(0)
	s_barrier
	s_mov_b32 s10, 0x3f5ff5aa
	s_mov_b32 s14, 0x3f3bfb3b
	s_waitcnt vmcnt(4)
	v_pk_mul_f32 v[76:77], v[34:35], v[12:13]
	s_waitcnt vmcnt(3)
	v_pk_mul_f32 v[78:79], v[38:39], v[18:19]
	v_mul_f32_e32 v75, v8, v63
	s_waitcnt vmcnt(1)
	v_pk_mul_f32 v[84:85], v[54:55], v[24:25]
	v_mov_b32_e32 v74, v79
	v_mov_b32_e32 v76, v85
	v_pk_fma_f32 v[84:85], v[38:39], v[18:19], v[74:75] neg_lo:[0,0,1] neg_hi:[0,0,1]
	v_mul_f32_e32 v83, v32, v23
	v_mov_b32_e32 v91, v20
	v_mov_b32_e32 v32, v77
	v_pk_fma_f32 v[76:77], v[54:55], v[24:25], v[76:77] neg_lo:[0,0,1] neg_hi:[0,0,1]
	v_mov_b32_e32 v55, v29
	v_mul_f32_e32 v85, v29, v20
	v_mov_b32_e32 v20, v25
	v_mul_f32_e32 v80, v28, v21
	v_pk_mul_f32 v[86:87], v[36:37], v[16:17] op_sel_hi:[1,0]
	v_mov_b32_e32 v90, v24
	v_pk_mul_f32 v[20:21], v[54:55], v[20:21]
	v_mov_b32_e32 v28, v17
	v_pk_fma_f32 v[16:17], v[36:37], v[16:17], v[86:87] op_sel:[0,1,1] op_sel_hi:[1,1,0] neg_lo:[1,0,0] neg_hi:[1,0,0]
	v_pk_fma_f32 v[24:25], v[72:73], v[24:25], v[20:21]
	v_pk_fma_f32 v[20:21], v[72:73], v[90:91], v[20:21] neg_lo:[0,0,1] neg_hi:[0,0,1]
	v_mul_f32_e32 v81, v33, v22
	v_pk_fma_f32 v[78:79], v[36:37], v[28:29], v[86:87] op_sel:[0,0,1] op_sel_hi:[1,1,0]
	v_pk_fma_f32 v[36:37], v[34:35], v[12:13], v[32:33] neg_lo:[0,0,1] neg_hi:[0,0,1]
	v_mov_b32_e32 v39, v33
	v_pk_mul_f32 v[32:33], v[68:69], v[26:27] op_sel_hi:[1,0]
	v_mov_b32_e32 v16, v27
	v_mov_b32_e32 v20, v27
	;; [unrolled: 1-line block ×3, first 2 shown]
	v_pk_fma_f32 v[26:27], v[68:69], v[16:17], v[32:33] op_sel:[0,0,1] op_sel_hi:[1,1,0]
	v_pk_fma_f32 v[32:33], v[68:69], v[20:21], v[32:33] op_sel:[0,0,1] op_sel_hi:[1,0,0] neg_lo:[1,0,0] neg_hi:[1,0,0]
	v_mov_b32_e32 v89, v22
	v_mov_b32_e32 v22, v19
	;; [unrolled: 1-line block ×3, first 2 shown]
	v_pk_add_f32 v[28:29], v[84:85], v[76:77]
	v_mov_b32_e32 v27, v33
	v_mov_b32_e32 v80, v17
	;; [unrolled: 1-line block ×5, first 2 shown]
	s_waitcnt vmcnt(0)
	v_pk_mul_f32 v[76:77], v[58:59], v[66:67] op_sel_hi:[1,0]
	v_pk_mul_f32 v[22:23], v[38:39], v[22:23]
	v_pk_add_f32 v[38:39], v[78:79], v[26:27]
	v_pk_add_f32 v[26:27], v[78:79], v[26:27] neg_lo:[0,1] neg_hi:[0,1]
	v_pk_add_f32 v[16:17], v[80:81], v[82:83]
	v_pk_fma_f32 v[78:79], v[58:59], v[20:21], v[76:77] op_sel:[0,0,1] op_sel_hi:[1,1,0]
	v_pk_fma_f32 v[58:59], v[58:59], v[66:67], v[76:77] op_sel:[0,1,1] op_sel_hi:[1,1,0] neg_lo:[1,0,0] neg_hi:[1,0,0]
	v_mov_b32_e32 v66, v4
	v_mov_b32_e32 v67, v31
	;; [unrolled: 1-line block ×3, first 2 shown]
	v_mul_f32_e32 v5, v61, v5
	v_mov_b32_e32 v80, v61
	v_mov_b32_e32 v81, v11
	;; [unrolled: 1-line block ×3, first 2 shown]
	v_fma_f32 v74, v60, v4, -v5
	v_mov_b32_e32 v4, v60
	v_mov_b32_e32 v5, v10
	v_pk_mul_f32 v[66:67], v[80:81], v[66:67]
	v_mul_f32_e32 v53, v9, v62
	v_pk_fma_f32 v[60:61], v[60:61], v[76:77], v[66:67]
	v_pk_fma_f32 v[4:5], v[4:5], v[76:77], v[66:67] neg_lo:[0,0,1] neg_hi:[0,0,1]
	v_mov_b32_e32 v67, v8
	v_mov_b32_e32 v76, v35
	v_mov_b32_e32 v8, v13
	v_mov_b32_e32 v35, v63
	v_mov_b32_e32 v66, v12
	v_mov_b32_e32 v77, v62
	v_pk_mul_f32 v[8:9], v[8:9], v[34:35]
	v_pk_mul_f32 v[34:35], v[56:57], v[14:15] op_sel_hi:[1,0]
	v_pk_fma_f32 v[12:13], v[12:13], v[76:77], v[8:9]
	v_pk_fma_f32 v[8:9], v[66:67], v[76:77], v[8:9] neg_lo:[0,0,1] neg_hi:[0,0,1]
	v_mov_b32_e32 v4, v15
	v_mov_b32_e32 v8, v15
	v_pk_fma_f32 v[14:15], v[56:57], v[4:5], v[34:35] op_sel:[0,0,1] op_sel_hi:[1,1,0]
	v_pk_fma_f32 v[34:35], v[56:57], v[8:9], v[34:35] op_sel:[0,0,1] op_sel_hi:[1,0,0] neg_lo:[1,0,0] neg_hi:[1,0,0]
	v_mov_b32_e32 v37, v53
	v_mov_b32_e32 v79, v59
	v_mov_b32_e32 v61, v5
	v_mul_f32_e32 v31, v10, v31
	v_mul_f32_e32 v11, v11, v30
	v_mov_b32_e32 v13, v9
	v_mov_b32_e32 v15, v35
	v_mov_b32_e32 v30, v59
	v_mov_b32_e32 v10, v35
	v_pk_add_f32 v[56:57], v[78:79], v[14:15]
	v_pk_add_f32 v[62:63], v[60:61], v[12:13]
	;; [unrolled: 1-line block ×4, first 2 shown]
	v_mov_b32_e32 v34, v11
	v_mov_b32_e32 v35, v74
	;; [unrolled: 1-line block ×8, first 2 shown]
	v_pk_add_f32 v[14:15], v[78:79], v[14:15] neg_lo:[0,1] neg_hi:[0,1]
	v_pk_add_f32 v[34:35], v[34:35], v[58:59] neg_lo:[0,1] neg_hi:[0,1]
	v_pk_add_f32 v[74:75], v[30:31], v[10:11]
	v_pk_add_f32 v[4:5], v[8:9], v[4:5]
	v_pk_add_f32 v[12:13], v[60:61], v[12:13] neg_lo:[0,1] neg_hi:[0,1]
	v_mov_b32_e32 v60, v34
	v_mov_b32_e32 v61, v15
	;; [unrolled: 1-line block ×7, first 2 shown]
	v_pk_add_f32 v[60:61], v[60:61], v[12:13] neg_lo:[0,1] neg_hi:[0,1]
	v_pk_add_f32 v[8:9], v[8:9], v[30:31] neg_lo:[0,1] neg_hi:[0,1]
	v_mov_b32_e32 v11, v75
	v_mov_b32_e32 v76, v4
	;; [unrolled: 1-line block ×3, first 2 shown]
	v_pk_add_f32 v[4:5], v[74:75], v[4:5]
	v_pk_add_f32 v[36:37], v[36:37], v[34:35] neg_lo:[0,1] neg_hi:[0,1]
	v_pk_mul_f32 v[60:61], v[60:61], s[12:13]
	v_pk_add_f32 v[66:67], v[12:13], v[34:35]
	v_pk_add_f32 v[76:77], v[10:11], v[76:77] neg_lo:[0,1] neg_hi:[0,1]
	v_pk_add_f32 v[2:3], v[4:5], v[2:3]
	v_pk_mul_f32 v[8:9], v[8:9], s[18:19]
	v_pk_mul_f32 v[58:59], v[36:37], s[4:5]
	v_pk_add_f32 v[66:67], v[66:67], v[14:15]
	v_pk_mul_f32 v[74:75], v[76:77], s[20:21]
	v_pk_fma_f32 v[4:5], v[4:5], s[16:17], v[2:3] op_sel_hi:[1,0,1] neg_lo:[1,0,0] neg_hi:[1,0,0]
	v_pk_fma_f32 v[76:77], v[76:77], s[20:21], v[8:9]
	v_pk_fma_f32 v[36:37], v[36:37], s[4:5], v[60:61]
	v_pk_add_f32 v[76:77], v[76:77], v[4:5]
	v_pk_fma_f32 v[36:37], v[66:67], s[0:1], v[36:37] op_sel_hi:[1,0,1]
	v_mov_b32_e32 v13, v35
	v_pk_add_f32 v[78:79], v[76:77], v[36:37]
	v_pk_add_f32 v[36:37], v[76:77], v[36:37] neg_lo:[0,1] neg_hi:[0,1]
	v_mov_b32_e32 v76, v78
	v_mov_b32_e32 v77, v37
	;; [unrolled: 1-line block ×4, first 2 shown]
	ds_write2_b64 v7, v[2:3], v[76:77] offset1:22
	v_pk_add_f32 v[2:3], v[12:13], v[14:15] neg_lo:[0,1] neg_hi:[0,1]
	v_pk_add_f32 v[10:11], v[30:31], v[10:11] neg_lo:[0,1] neg_hi:[0,1]
	v_mov_b32_e32 v12, v74
	v_mov_b32_e32 v13, v9
	;; [unrolled: 1-line block ×7, first 2 shown]
	v_pk_fma_f32 v[12:13], v[10:11], s[14:15], v[12:13] op_sel_hi:[1,0,1] neg_lo:[1,0,1] neg_hi:[1,0,1]
	v_pk_fma_f32 v[14:15], v[2:3], s[10:11], v[14:15] op_sel_hi:[1,0,1] neg_lo:[1,0,1] neg_hi:[1,0,1]
	;; [unrolled: 1-line block ×4, first 2 shown]
	v_pk_fma_f32 v[18:19], v[70:71], v[18:19], v[22:23]
	v_pk_fma_f32 v[22:23], v[70:71], v[88:89], v[22:23] neg_lo:[0,0,1] neg_hi:[0,0,1]
	v_pk_add_f32 v[12:13], v[12:13], v[4:5]
	v_pk_fma_f32 v[14:15], v[66:67], s[0:1], v[14:15] op_sel_hi:[1,0,1]
	v_pk_add_f32 v[4:5], v[8:9], v[4:5]
	v_pk_fma_f32 v[2:3], v[66:67], s[0:1], v[2:3] op_sel_hi:[1,0,1]
	v_mov_b32_e32 v19, v23
	v_mov_b32_e32 v25, v21
	v_pk_add_f32 v[30:31], v[12:13], v[14:15]
	v_pk_add_f32 v[12:13], v[12:13], v[14:15] neg_lo:[0,1] neg_hi:[0,1]
	v_pk_add_f32 v[8:9], v[4:5], v[2:3] neg_lo:[0,1] neg_hi:[0,1]
	v_pk_add_f32 v[2:3], v[4:5], v[2:3]
	v_pk_add_f32 v[54:55], v[18:19], v[24:25]
	v_mov_b32_e32 v14, v30
	v_mov_b32_e32 v15, v13
	;; [unrolled: 1-line block ×4, first 2 shown]
	v_pk_add_f32 v[18:19], v[18:19], v[24:25] neg_lo:[0,1] neg_hi:[0,1]
	v_mov_b32_e32 v24, v17
	v_mov_b32_e32 v25, v84
	;; [unrolled: 1-line block ×3, first 2 shown]
	ds_write2_b64 v7, v[14:15], v[4:5] offset0:44 offset1:66
	v_mov_b32_e32 v3, v9
	v_mov_b32_e32 v13, v31
	v_mov_b32_e32 v4, v21
	v_mov_b32_e32 v5, v54
	v_mov_b32_e32 v8, v23
	v_mov_b32_e32 v9, v38
	v_pk_add_f32 v[24:25], v[24:25], v[32:33] neg_lo:[0,1] neg_hi:[0,1]
	ds_write2_b64 v7, v[2:3], v[12:13] offset0:88 offset1:110
	v_pk_add_f32 v[2:3], v[28:29], v[16:17]
	v_pk_add_f32 v[4:5], v[4:5], v[8:9]
	v_mov_b32_e32 v70, v24
	v_mov_b32_e32 v71, v27
	;; [unrolled: 1-line block ×6, first 2 shown]
	v_pk_add_f32 v[70:71], v[70:71], v[18:19] neg_lo:[0,1] neg_hi:[0,1]
	v_pk_add_f32 v[8:9], v[8:9], v[28:29] neg_lo:[0,1] neg_hi:[0,1]
	v_mov_b32_e32 v17, v3
	v_mov_b32_e32 v10, v4
	;; [unrolled: 1-line block ×3, first 2 shown]
	v_pk_add_f32 v[2:3], v[2:3], v[4:5]
	v_pk_add_f32 v[32:33], v[32:33], v[24:25] neg_lo:[0,1] neg_hi:[0,1]
	v_pk_mul_f32 v[70:71], v[70:71], s[12:13]
	v_pk_add_f32 v[72:73], v[18:19], v[24:25]
	v_pk_add_f32 v[10:11], v[16:17], v[10:11] neg_lo:[0,1] neg_hi:[0,1]
	v_pk_add_f32 v[0:1], v[2:3], v[0:1]
	v_pk_mul_f32 v[4:5], v[8:9], s[18:19]
	v_pk_add_f32 v[72:73], v[72:73], v[26:27]
	v_pk_mul_f32 v[8:9], v[10:11], s[20:21]
	v_pk_fma_f32 v[2:3], v[2:3], s[16:17], v[0:1] op_sel_hi:[1,0,1] neg_lo:[1,0,0] neg_hi:[1,0,0]
	v_pk_fma_f32 v[10:11], v[10:11], s[20:21], v[4:5]
	v_pk_fma_f32 v[12:13], v[32:33], s[4:5], v[70:71]
	v_pk_add_f32 v[10:11], v[10:11], v[2:3]
	v_pk_fma_f32 v[12:13], v[72:73], s[0:1], v[12:13] op_sel_hi:[1,0,1]
	v_pk_mul_f32 v[68:69], v[32:33], s[4:5]
	v_pk_add_f32 v[14:15], v[10:11], v[12:13]
	v_pk_add_f32 v[10:11], v[10:11], v[12:13] neg_lo:[0,1] neg_hi:[0,1]
	v_mov_b32_e32 v37, v79
	v_mov_b32_e32 v12, v14
	;; [unrolled: 1-line block ×6, first 2 shown]
	ds_write_b64 v7, v[36:37] offset:1056
	ds_write2_b64 v49, v[0:1], v[12:13] offset1:22
	v_pk_add_f32 v[0:1], v[18:19], v[26:27] neg_lo:[0,1] neg_hi:[0,1]
	v_pk_add_f32 v[12:13], v[28:29], v[16:17] neg_lo:[0,1] neg_hi:[0,1]
	v_mov_b32_e32 v16, v8
	v_mov_b32_e32 v17, v5
	;; [unrolled: 1-line block ×6, first 2 shown]
	v_pk_fma_f32 v[16:17], v[12:13], s[14:15], v[16:17] op_sel_hi:[1,0,1] neg_lo:[1,0,1] neg_hi:[1,0,1]
	v_pk_fma_f32 v[18:19], v[0:1], s[10:11], v[18:19] op_sel_hi:[1,0,1] neg_lo:[1,0,1] neg_hi:[1,0,1]
	;; [unrolled: 1-line block ×4, first 2 shown]
	v_pk_add_f32 v[16:17], v[16:17], v[2:3]
	v_pk_fma_f32 v[18:19], v[72:73], s[0:1], v[18:19] op_sel_hi:[1,0,1]
	v_pk_add_f32 v[2:3], v[4:5], v[2:3]
	v_pk_fma_f32 v[0:1], v[72:73], s[0:1], v[0:1] op_sel_hi:[1,0,1]
	v_pk_add_f32 v[20:21], v[16:17], v[18:19]
	v_pk_add_f32 v[16:17], v[16:17], v[18:19] neg_lo:[0,1] neg_hi:[0,1]
	v_pk_add_f32 v[4:5], v[2:3], v[0:1] neg_lo:[0,1] neg_hi:[0,1]
	v_pk_add_f32 v[0:1], v[2:3], v[0:1]
	v_mov_b32_e32 v19, v17
	v_mov_b32_e32 v3, v1
	v_mov_b32_e32 v1, v5
	v_mov_b32_e32 v17, v21
	v_mov_b32_e32 v18, v20
	v_mov_b32_e32 v2, v4
	ds_write2_b64 v49, v[0:1], v[16:17] offset0:88 offset1:110
	v_mul_i32_i24_e32 v0, 6, v46
	v_mov_b32_e32 v1, 0
	ds_write2_b64 v49, v[18:19], v[2:3] offset0:44 offset1:66
	v_mov_b32_e32 v11, v15
	v_lshl_add_u64 v[2:3], v[0:1], 3, s[8:9]
	ds_write_b64 v49, v[10:11] offset:1056
	s_waitcnt lgkmcnt(0)
	s_barrier
	global_load_dwordx4 v[8:11], v[2:3], off offset:1216
	global_load_dwordx4 v[12:15], v[2:3], off offset:1232
	;; [unrolled: 1-line block ×3, first 2 shown]
	v_mul_u32_u24_e32 v0, 6, v44
	v_lshlrev_b32_e32 v0, 3, v0
	global_load_dwordx4 v[20:23], v0, s[8:9] offset:1216
	global_load_dwordx4 v[24:27], v0, s[8:9] offset:1248
	;; [unrolled: 1-line block ×3, first 2 shown]
	ds_read_b64 v[62:63], v65
	ds_read_b64 v[66:67], v96
	ds_read2_b64 v[32:35], v93 offset0:39 offset1:193
	ds_read2_b64 v[36:39], v92 offset0:27 offset1:104
	;; [unrolled: 1-line block ×3, first 2 shown]
	ds_read_b64 v[68:69], v97
	ds_read_b64 v[2:3], v6
	ds_read2_b64 v[58:61], v94 offset0:79 offset1:156
	ds_read_b64 v[78:79], v95
	ds_read_b64 v[80:81], v47 offset:8008
	s_waitcnt lgkmcnt(0)
	s_barrier
	s_waitcnt vmcnt(5)
	v_pk_mul_f32 v[4:5], v[34:35], v[10:11]
	s_nop 0
	v_mov_b32_e32 v0, v5
	s_waitcnt vmcnt(3)
	v_pk_mul_f32 v[4:5], v[58:59], v[16:17]
	v_pk_fma_f32 v[70:71], v[34:35], v[10:11], v[0:1] neg_lo:[0,0,1] neg_hi:[0,0,1]
	v_mov_b32_e32 v0, v5
	v_pk_fma_f32 v[76:77], v[58:59], v[16:17], v[0:1] neg_lo:[0,0,1] neg_hi:[0,0,1]
	v_pk_mul_f32 v[82:83], v[32:33], v[8:9] op_sel_hi:[1,0]
	v_mov_b32_e32 v0, v9
	v_mul_f32_e32 v73, v55, v14
	v_pk_fma_f32 v[84:85], v[32:33], v[0:1], v[82:83] op_sel:[0,0,1] op_sel_hi:[1,1,0]
	v_pk_fma_f32 v[8:9], v[32:33], v[8:9], v[82:83] op_sel:[0,1,1] op_sel_hi:[1,1,0] neg_lo:[1,0,0] neg_hi:[1,0,0]
	v_mov_b32_e32 v32, v35
	v_mov_b32_e32 v83, v14
	;; [unrolled: 1-line block ×4, first 2 shown]
	v_mul_f32_e32 v75, v54, v15
	v_mov_b32_e32 v33, v54
	v_mov_b32_e32 v82, v10
	v_pk_mul_f32 v[14:15], v[34:35], v[14:15]
	v_mul_f32_e32 v71, v37, v12
	v_pk_fma_f32 v[10:11], v[32:33], v[10:11], v[14:15]
	v_pk_fma_f32 v[14:15], v[32:33], v[82:83], v[14:15] neg_lo:[0,0,1] neg_hi:[0,0,1]
	v_mov_b32_e32 v32, v59
	v_mov_b32_e32 v35, v12
	;; [unrolled: 1-line block ×4, first 2 shown]
	v_mul_f32_e32 v7, v36, v13
	v_mov_b32_e32 v33, v36
	v_mov_b32_e32 v34, v16
	v_pk_mul_f32 v[12:13], v[58:59], v[12:13]
	v_mov_b32_e32 v0, v19
	v_pk_fma_f32 v[16:17], v[32:33], v[16:17], v[12:13]
	v_pk_fma_f32 v[12:13], v[32:33], v[34:35], v[12:13] neg_lo:[0,0,1] neg_hi:[0,0,1]
	v_pk_mul_f32 v[32:33], v[80:81], v[18:19] op_sel_hi:[1,0]
	v_mov_b32_e32 v8, v19
	v_pk_fma_f32 v[18:19], v[80:81], v[0:1], v[32:33] op_sel:[0,0,1] op_sel_hi:[1,1,0]
	v_pk_fma_f32 v[32:33], v[80:81], v[8:9], v[32:33] op_sel:[0,0,1] op_sel_hi:[1,0,0] neg_lo:[1,0,0] neg_hi:[1,0,0]
	v_mov_b32_e32 v72, v9
	v_mov_b32_e32 v74, v33
	;; [unrolled: 1-line block ×3, first 2 shown]
	v_pk_add_f32 v[8:9], v[72:73], v[74:75]
	v_mov_b32_e32 v0, v79
	s_waitcnt vmcnt(2)
	v_pk_mul_f32 v[72:73], v[20:21], v[78:79] op_sel_hi:[1,0]
	v_mov_b32_e32 v77, v7
	v_pk_fma_f32 v[74:75], v[20:21], v[0:1], v[72:73] op_sel:[0,0,1] op_sel_hi:[1,1,0]
	v_mul_f32_e32 v0, v23, v67
	v_pk_add_f32 v[4:5], v[70:71], v[76:77]
	v_mov_b32_e32 v19, v33
	v_mov_b32_e32 v33, v76
	v_pk_fma_f32 v[20:21], v[20:21], v[78:79], v[72:73] op_sel:[0,1,1] op_sel_hi:[1,1,0] neg_lo:[1,0,0] neg_hi:[1,0,0]
	v_mov_b32_e32 v72, v66
	v_mov_b32_e32 v76, v67
	v_fma_f32 v66, v22, v66, -v0
	v_mov_b32_e32 v78, v56
	v_mov_b32_e32 v79, v69
	s_waitcnt vmcnt(0)
	v_mul_f32_e32 v67, v28, v69
	v_mov_b32_e32 v80, v57
	v_mul_f32_e32 v0, v25, v57
	v_mov_b32_e32 v57, v28
	v_mov_b32_e32 v28, v25
	v_pk_add_f32 v[34:35], v[84:85], v[18:19]
	v_pk_add_f32 v[18:19], v[84:85], v[18:19] neg_lo:[0,1] neg_hi:[0,1]
	v_mov_b32_e32 v73, v39
	v_mov_b32_e32 v81, v68
	v_mul_f32_e32 v69, v29, v68
	v_mov_b32_e32 v84, v23
	v_mov_b32_e32 v85, v31
	v_fma_f32 v68, v24, v56, -v0
	v_mov_b32_e32 v56, v24
	v_pk_mul_f32 v[28:29], v[28:29], v[78:79]
	v_mov_b32_e32 v77, v38
	v_mov_b32_e32 v82, v22
	;; [unrolled: 1-line block ×3, first 2 shown]
	v_pk_mul_f32 v[72:73], v[84:85], v[72:73]
	v_pk_fma_f32 v[24:25], v[24:25], v[80:81], v[28:29]
	v_pk_fma_f32 v[28:29], v[56:57], v[80:81], v[28:29] neg_lo:[0,0,1] neg_hi:[0,0,1]
	v_pk_mul_f32 v[56:57], v[60:61], v[26:27] op_sel_hi:[1,0]
	v_mov_b32_e32 v0, v27
	v_mov_b32_e32 v12, v27
	v_pk_fma_f32 v[22:23], v[22:23], v[76:77], v[72:73]
	v_pk_fma_f32 v[72:73], v[82:83], v[76:77], v[72:73] neg_lo:[0,0,1] neg_hi:[0,0,1]
	v_pk_fma_f32 v[26:27], v[60:61], v[0:1], v[56:57] op_sel:[0,0,1] op_sel_hi:[1,1,0]
	v_pk_fma_f32 v[56:57], v[60:61], v[12:13], v[56:57] op_sel:[0,0,1] op_sel_hi:[1,0,0] neg_lo:[1,0,0] neg_hi:[1,0,0]
	v_mov_b32_e32 v75, v21
	v_mov_b32_e32 v23, v73
	v_mul_f32_e32 v39, v30, v39
	v_mul_f32_e32 v31, v31, v38
	v_mov_b32_e32 v25, v29
	v_mov_b32_e32 v27, v57
	;; [unrolled: 1-line block ×4, first 2 shown]
	v_pk_add_f32 v[60:61], v[74:75], v[26:27]
	v_pk_add_f32 v[26:27], v[74:75], v[26:27] neg_lo:[0,1] neg_hi:[0,1]
	v_pk_add_f32 v[74:75], v[22:23], v[24:25]
	v_pk_add_f32 v[22:23], v[22:23], v[24:25] neg_lo:[0,1] neg_hi:[0,1]
	v_pk_add_f32 v[20:21], v[38:39], v[30:31]
	v_pk_add_f32 v[24:25], v[66:67], v[68:69]
	v_mov_b32_e32 v30, v21
	v_mov_b32_e32 v31, v66
	v_mov_b32_e32 v38, v25
	v_mov_b32_e32 v39, v68
	v_mov_b32_e32 v28, v29
	v_mov_b32_e32 v29, v74
	v_mov_b32_e32 v72, v73
	v_mov_b32_e32 v73, v60
	v_pk_add_f32 v[30:31], v[30:31], v[38:39] neg_lo:[0,1] neg_hi:[0,1]
	v_pk_add_f32 v[76:77], v[24:25], v[20:21]
	v_pk_add_f32 v[28:29], v[28:29], v[72:73]
	v_mov_b32_e32 v38, v26
	v_mov_b32_e32 v39, v23
	;; [unrolled: 1-line block ×9, first 2 shown]
	v_pk_add_f32 v[38:39], v[38:39], v[30:31] neg_lo:[0,1] neg_hi:[0,1]
	v_pk_add_f32 v[66:67], v[66:67], v[22:23] neg_lo:[0,1] neg_hi:[0,1]
	;; [unrolled: 1-line block ×4, first 2 shown]
	v_pk_mul_f32 v[56:57], v[38:39], s[4:5]
	v_pk_mul_f32 v[66:67], v[66:67], s[12:13]
	v_pk_add_f32 v[68:69], v[22:23], v[30:31]
	v_pk_add_f32 v[28:29], v[76:77], v[28:29]
	v_pk_mul_f32 v[72:73], v[72:73], s[18:19]
	v_pk_mul_f32 v[76:77], v[78:79], s[20:21]
	v_mov_b32_e32 v23, v31
	v_mov_b32_e32 v25, v74
	;; [unrolled: 1-line block ×3, first 2 shown]
	v_pk_add_f32 v[68:69], v[68:69], v[26:27]
	v_pk_add_f32 v[62:63], v[28:29], v[62:63]
	v_pk_fma_f32 v[78:79], v[78:79], s[20:21], v[72:73]
	v_pk_fma_f32 v[38:39], v[38:39], s[4:5], v[66:67]
	v_pk_add_f32 v[22:23], v[22:23], v[26:27] neg_lo:[0,1] neg_hi:[0,1]
	v_pk_add_f32 v[20:21], v[24:25], v[20:21] neg_lo:[0,1] neg_hi:[0,1]
	v_mov_b32_e32 v24, v76
	v_mov_b32_e32 v25, v73
	v_mov_b32_e32 v26, v56
	v_mov_b32_e32 v27, v67
	v_mov_b32_e32 v73, v77
	v_mov_b32_e32 v67, v57
	v_pk_fma_f32 v[28:29], v[28:29], s[16:17], v[62:63] op_sel_hi:[1,0,1] neg_lo:[1,0,0] neg_hi:[1,0,0]
	v_pk_fma_f32 v[24:25], v[20:21], s[14:15], v[24:25] op_sel_hi:[1,0,1] neg_lo:[1,0,1] neg_hi:[1,0,1]
	;; [unrolled: 1-line block ×5, first 2 shown]
	v_pk_add_f32 v[24:25], v[24:25], v[28:29]
	v_pk_fma_f32 v[26:27], v[68:69], s[0:1], v[26:27] op_sel_hi:[1,0,1]
	v_pk_add_f32 v[20:21], v[20:21], v[28:29]
	v_pk_fma_f32 v[22:23], v[68:69], s[0:1], v[22:23] op_sel_hi:[1,0,1]
	v_mov_b32_e32 v11, v15
	v_mov_b32_e32 v17, v13
	v_pk_add_f32 v[78:79], v[78:79], v[28:29]
	v_pk_add_f32 v[30:31], v[24:25], v[26:27]
	v_pk_add_f32 v[24:25], v[24:25], v[26:27] neg_lo:[0,1] neg_hi:[0,1]
	v_pk_add_f32 v[28:29], v[20:21], v[22:23] neg_lo:[0,1] neg_hi:[0,1]
	v_pk_add_f32 v[20:21], v[20:21], v[22:23]
	v_pk_add_f32 v[36:37], v[10:11], v[16:17]
	v_mov_b32_e32 v26, v30
	v_mov_b32_e32 v27, v25
	v_mov_b32_e32 v22, v28
	v_mov_b32_e32 v23, v21
	v_add_u32_e32 v0, 0x800, v47
	v_pk_add_f32 v[10:11], v[10:11], v[16:17] neg_lo:[0,1] neg_hi:[0,1]
	v_mov_b32_e32 v16, v9
	v_mov_b32_e32 v17, v70
	;; [unrolled: 1-line block ×3, first 2 shown]
	ds_write2_b64 v0, v[26:27], v[22:23] offset0:52 offset1:206
	v_mov_b32_e32 v21, v29
	v_mov_b32_e32 v25, v31
	v_add_u32_e32 v0, 0x1200, v47
	v_mov_b32_e32 v12, v13
	v_mov_b32_e32 v13, v36
	;; [unrolled: 1-line block ×4, first 2 shown]
	v_pk_add_f32 v[16:17], v[16:17], v[32:33] neg_lo:[0,1] neg_hi:[0,1]
	ds_write2_b64 v0, v[20:21], v[24:25] offset0:40 offset1:194
	v_pk_add_f32 v[20:21], v[4:5], v[8:9]
	v_pk_add_f32 v[12:13], v[12:13], v[14:15]
	v_mov_b32_e32 v58, v16
	v_mov_b32_e32 v59, v19
	;; [unrolled: 1-line block ×6, first 2 shown]
	v_pk_add_f32 v[58:59], v[58:59], v[10:11] neg_lo:[0,1] neg_hi:[0,1]
	v_pk_add_f32 v[14:15], v[14:15], v[4:5] neg_lo:[0,1] neg_hi:[0,1]
	v_mov_b32_e32 v9, v21
	v_mov_b32_e32 v22, v12
	;; [unrolled: 1-line block ×3, first 2 shown]
	v_pk_add_f32 v[12:13], v[20:21], v[12:13]
	v_pk_add_f32 v[32:33], v[32:33], v[16:17] neg_lo:[0,1] neg_hi:[0,1]
	v_pk_mul_f32 v[58:59], v[58:59], s[12:13]
	v_pk_add_f32 v[70:71], v[10:11], v[16:17]
	v_pk_add_f32 v[22:23], v[8:9], v[22:23] neg_lo:[0,1] neg_hi:[0,1]
	v_pk_add_f32 v[2:3], v[12:13], v[2:3]
	v_pk_mul_f32 v[14:15], v[14:15], s[18:19]
	v_pk_add_f32 v[70:71], v[70:71], v[18:19]
	v_pk_mul_f32 v[20:21], v[22:23], s[20:21]
	v_pk_fma_f32 v[12:13], v[12:13], s[16:17], v[2:3] op_sel_hi:[1,0,1] neg_lo:[1,0,0] neg_hi:[1,0,0]
	v_pk_fma_f32 v[22:23], v[22:23], s[20:21], v[14:15]
	v_pk_fma_f32 v[24:25], v[32:33], s[4:5], v[58:59]
	v_pk_fma_f32 v[38:39], v[68:69], s[0:1], v[38:39] op_sel_hi:[1,0,1]
	v_pk_add_f32 v[22:23], v[22:23], v[12:13]
	v_pk_fma_f32 v[24:25], v[70:71], s[0:1], v[24:25] op_sel_hi:[1,0,1]
	v_pk_add_f32 v[80:81], v[78:79], v[38:39]
	v_pk_add_f32 v[38:39], v[78:79], v[38:39] neg_lo:[0,1] neg_hi:[0,1]
	v_pk_add_f32 v[26:27], v[22:23], v[24:25]
	v_pk_add_f32 v[22:23], v[22:23], v[24:25] neg_lo:[0,1] neg_hi:[0,1]
	v_pk_mul_f32 v[54:55], v[32:33], s[4:5]
	v_mov_b32_e32 v78, v80
	v_mov_b32_e32 v79, v39
	;; [unrolled: 1-line block ×8, first 2 shown]
	ds_write2_b64 v47, v[62:63], v[78:79] offset1:154
	ds_write_b64 v47, v[38:39] offset:7392
	ds_write2_b64 v6, v[2:3], v[24:25] offset1:154
	v_pk_add_f32 v[2:3], v[10:11], v[18:19] neg_lo:[0,1] neg_hi:[0,1]
	v_pk_add_f32 v[4:5], v[4:5], v[8:9] neg_lo:[0,1] neg_hi:[0,1]
	v_mov_b32_e32 v8, v20
	v_mov_b32_e32 v9, v15
	;; [unrolled: 1-line block ×6, first 2 shown]
	v_pk_fma_f32 v[8:9], v[4:5], s[14:15], v[8:9] op_sel_hi:[1,0,1] neg_lo:[1,0,1] neg_hi:[1,0,1]
	v_pk_fma_f32 v[10:11], v[2:3], s[10:11], v[10:11] op_sel_hi:[1,0,1] neg_lo:[1,0,1] neg_hi:[1,0,1]
	;; [unrolled: 1-line block ×4, first 2 shown]
	v_pk_add_f32 v[8:9], v[8:9], v[12:13]
	v_pk_fma_f32 v[10:11], v[70:71], s[0:1], v[10:11] op_sel_hi:[1,0,1]
	v_pk_add_f32 v[4:5], v[4:5], v[12:13]
	v_pk_fma_f32 v[2:3], v[70:71], s[0:1], v[2:3] op_sel_hi:[1,0,1]
	v_pk_add_f32 v[16:17], v[8:9], v[10:11]
	v_pk_add_f32 v[8:9], v[8:9], v[10:11] neg_lo:[0,1] neg_hi:[0,1]
	v_pk_add_f32 v[12:13], v[4:5], v[2:3] neg_lo:[0,1] neg_hi:[0,1]
	v_pk_add_f32 v[2:3], v[4:5], v[2:3]
	v_mov_b32_e32 v10, v16
	v_mov_b32_e32 v11, v9
	v_mov_b32_e32 v4, v12
	v_mov_b32_e32 v5, v3
	v_add_u32_e32 v0, 0x800, v6
	ds_write2_b64 v0, v[10:11], v[4:5] offset0:52 offset1:206
	v_mov_b32_e32 v3, v13
	v_mov_b32_e32 v9, v17
	v_add_u32_e32 v0, 0x1200, v6
	v_mov_b32_e32 v23, v27
	ds_write2_b64 v0, v[2:3], v[8:9] offset0:40 offset1:194
	ds_write_b64 v6, v[22:23] offset:7392
	s_waitcnt lgkmcnt(0)
	s_barrier
	ds_read_b64 v[6:7], v65
	s_add_u32 s4, s8, 0x21a0
	s_addc_u32 s5, s9, 0
	v_sub_u32_e32 v0, v64, v45
	v_cmp_ne_u32_e64 s[0:1], 0, v44
                                        ; implicit-def: $vgpr3
                                        ; implicit-def: $vgpr8
                                        ; implicit-def: $vgpr4_vgpr5
	s_and_saveexec_b64 s[8:9], s[0:1]
	s_xor_b64 s[0:1], exec, s[8:9]
	s_cbranch_execz .LBB0_18
; %bb.17:
	v_mov_b32_e32 v45, v1
	v_lshl_add_u64 v[2:3], v[44:45], 3, s[4:5]
	global_load_dwordx2 v[2:3], v[2:3], off
	ds_read_b64 v[4:5], v0 offset:8624
	s_waitcnt lgkmcnt(0)
	v_pk_add_f32 v[8:9], v[4:5], v[6:7]
	v_pk_add_f32 v[4:5], v[6:7], v[4:5] neg_lo:[0,1] neg_hi:[0,1]
	v_pk_mul_f32 v[6:7], v[8:9], 0.5 op_sel_hi:[1,0]
	v_mul_f32_e32 v1, 0.5, v4
	v_mul_f32_e32 v11, 0.5, v5
	s_waitcnt vmcnt(0)
	v_mul_f32_e32 v4, v3, v1
	v_mov_b32_e32 v5, v2
	v_fma_f32 v10, v3, v1, v6
	v_fma_f32 v12, v7, v3, v11
	v_fma_f32 v3, v7, v3, -v11
	v_pk_mul_f32 v[6:7], v[6:7], v[4:5]
	v_pk_fma_f32 v[4:5], v[8:9], 0.5, v[4:5] op_sel_hi:[1,0,1] neg_lo:[0,0,1] neg_hi:[0,0,1]
	v_mov_b32_e32 v11, v7
	v_fma_f32 v5, -v2, v1, v12
	v_fma_f32 v2, -v2, v1, v3
	v_mov_b32_e32 v1, v4
	ds_write_b32 v65, v5 offset:4
	ds_write_b32 v0, v2 offset:8628
	v_add_f32_e32 v8, v7, v10
	v_pk_add_f32 v[2:3], v[0:1], v[10:11] neg_lo:[0,1] neg_hi:[0,1]
	v_mov_b64_e32 v[4:5], v[44:45]
                                        ; implicit-def: $vgpr6_vgpr7
.LBB0_18:
	s_andn2_saveexec_b64 s[0:1], s[0:1]
	s_cbranch_execz .LBB0_20
; %bb.19:
	v_mov_b32_e32 v1, 0
	ds_write_b32 v65, v1 offset:4
	ds_write_b32 v0, v1 offset:8628
	ds_read_b32 v1, v64 offset:4316
	s_waitcnt lgkmcnt(3)
	v_pk_add_f32 v[2:3], v[6:7], v[6:7] op_sel:[0,1] op_sel_hi:[0,1] neg_lo:[0,1] neg_hi:[0,1]
	v_add_f32_e32 v8, v6, v7
	v_mov_b64_e32 v[4:5], 0
	s_waitcnt lgkmcnt(0)
	v_xor_b32_e32 v1, 0x80000000, v1
	ds_write_b32 v64, v1 offset:4316
.LBB0_20:
	s_or_b64 exec, exec, s[0:1]
	v_mov_b32_e32 v47, 0
	s_waitcnt lgkmcnt(0)
	v_lshl_add_u64 v[6:7], v[46:47], 3, s[4:5]
	global_load_dwordx2 v[6:7], v[6:7], off
	v_mov_b32_e32 v53, v47
	v_lshl_add_u64 v[10:11], v[52:53], 3, s[4:5]
	global_load_dwordx2 v[10:11], v[10:11], off
	v_mov_b32_e32 v51, v47
	v_lshl_add_u64 v[4:5], v[4:5], 3, s[4:5]
	v_lshl_add_u64 v[14:15], v[50:51], 3, s[4:5]
	global_load_dwordx2 v[14:15], v[14:15], off
	v_lshl_add_u32 v1, v46, 3, v64
	global_load_dwordx2 v[12:13], v[4:5], off offset:1848
	ds_write_b32 v65, v8
	ds_write_b32 v0, v3 offset:8624
	ds_read_b64 v[8:9], v1
	ds_read_b64 v[16:17], v0 offset:8008
	global_load_dwordx2 v[4:5], v[4:5], off offset:3080
	v_mov_b32_e32 v3, 0.5
	v_mov_b32_e32 v18, v3
	v_mov_b32_e32 v49, v47
	s_waitcnt lgkmcnt(0)
	v_pk_add_f32 v[22:23], v[8:9], v[16:17]
	v_pk_add_f32 v[8:9], v[8:9], v[16:17] neg_lo:[0,1] neg_hi:[0,1]
	v_mov_b32_e32 v16, v23
	v_mov_b32_e32 v17, v8
	v_pk_mul_f32 v[16:17], v[16:17], 0.5 op_sel_hi:[1,0]
	v_lshl_add_u32 v24, v52, 3, v64
	v_mov_b32_e32 v23, v16
	v_mov_b32_e32 v8, v17
	;; [unrolled: 1-line block ×3, first 2 shown]
	s_waitcnt vmcnt(4)
	v_mov_b32_e32 v19, v7
	v_mov_b32_e32 v2, v7
	v_pk_mul_f32 v[18:19], v[22:23], v[18:19]
	s_waitcnt vmcnt(3)
	v_mov_b32_e32 v21, v11
	v_pk_fma_f32 v[22:23], v[2:3], v[8:9], v[18:19] neg_lo:[1,0,0] neg_hi:[1,0,0]
	v_pk_fma_f32 v[8:9], v[2:3], v[8:9], v[18:19]
	v_pk_fma_f32 v[18:19], v[6:7], v[16:17], v[22:23] op_sel_hi:[0,1,1] neg_lo:[1,0,0] neg_hi:[1,0,0]
	v_pk_fma_f32 v[22:23], v[6:7], v[16:17], v[8:9] op_sel_hi:[0,1,1]
	v_pk_fma_f32 v[6:7], v[6:7], v[16:17], v[8:9] op_sel_hi:[0,1,1] neg_lo:[1,0,0] neg_hi:[1,0,0]
	v_mov_b32_e32 v23, v7
	ds_write_b64 v1, v[22:23]
	ds_write_b64 v0, v[18:19] offset:8008
	v_lshl_add_u64 v[16:17], v[48:49], 3, s[4:5]
	ds_read_b64 v[6:7], v24
	ds_read_b64 v[8:9], v0 offset:7392
	global_load_dwordx2 v[16:17], v[16:17], off
	v_mov_b32_e32 v2, v11
	v_lshl_add_u32 v1, v50, 3, v64
	s_waitcnt lgkmcnt(0)
	v_pk_add_f32 v[18:19], v[6:7], v[8:9]
	v_pk_add_f32 v[6:7], v[6:7], v[8:9] neg_lo:[0,1] neg_hi:[0,1]
	v_mov_b32_e32 v8, v19
	v_mov_b32_e32 v9, v6
	v_pk_mul_f32 v[8:9], v[8:9], 0.5 op_sel_hi:[1,0]
	s_nop 0
	v_mov_b32_e32 v19, v8
	v_mov_b32_e32 v6, v9
	v_pk_mul_f32 v[18:19], v[18:19], v[20:21]
	s_nop 0
	v_pk_fma_f32 v[20:21], v[2:3], v[6:7], v[18:19] neg_lo:[1,0,0] neg_hi:[1,0,0]
	v_pk_fma_f32 v[6:7], v[2:3], v[6:7], v[18:19]
	v_pk_fma_f32 v[18:19], v[10:11], v[8:9], v[20:21] op_sel_hi:[0,1,1] neg_lo:[1,0,0] neg_hi:[1,0,0]
	v_pk_fma_f32 v[20:21], v[10:11], v[8:9], v[6:7] op_sel_hi:[0,1,1]
	v_pk_fma_f32 v[6:7], v[10:11], v[8:9], v[6:7] op_sel_hi:[0,1,1] neg_lo:[1,0,0] neg_hi:[1,0,0]
	v_mov_b32_e32 v21, v7
	ds_write_b64 v24, v[20:21]
	ds_write_b64 v0, v[18:19] offset:7392
	ds_read_b64 v[6:7], v65 offset:1848
	ds_read_b64 v[8:9], v0 offset:6776
	v_mov_b32_e32 v10, v3
	s_waitcnt vmcnt(2)
	v_mov_b32_e32 v11, v13
	v_mov_b32_e32 v2, v13
	s_waitcnt lgkmcnt(0)
	v_pk_add_f32 v[18:19], v[6:7], v[8:9]
	v_pk_add_f32 v[6:7], v[6:7], v[8:9] neg_lo:[0,1] neg_hi:[0,1]
	v_mov_b32_e32 v8, v19
	v_mov_b32_e32 v9, v6
	v_pk_mul_f32 v[8:9], v[8:9], 0.5 op_sel_hi:[1,0]
	s_nop 0
	v_mov_b32_e32 v19, v8
	v_mov_b32_e32 v6, v9
	v_pk_mul_f32 v[10:11], v[18:19], v[10:11]
	s_nop 0
	v_pk_fma_f32 v[18:19], v[2:3], v[6:7], v[10:11] neg_lo:[1,0,0] neg_hi:[1,0,0]
	v_pk_fma_f32 v[6:7], v[2:3], v[6:7], v[10:11]
	v_pk_fma_f32 v[10:11], v[12:13], v[8:9], v[18:19] op_sel_hi:[0,1,1] neg_lo:[1,0,0] neg_hi:[1,0,0]
	v_pk_fma_f32 v[18:19], v[12:13], v[8:9], v[6:7] op_sel_hi:[0,1,1]
	v_pk_fma_f32 v[6:7], v[12:13], v[8:9], v[6:7] op_sel_hi:[0,1,1] neg_lo:[1,0,0] neg_hi:[1,0,0]
	v_mov_b32_e32 v19, v7
	ds_write_b64 v65, v[18:19] offset:1848
	ds_write_b64 v0, v[10:11] offset:6776
	ds_read_b64 v[6:7], v1
	ds_read_b64 v[8:9], v0 offset:6160
	v_mov_b32_e32 v10, v3
	v_mov_b32_e32 v11, v15
	;; [unrolled: 1-line block ×3, first 2 shown]
	s_waitcnt lgkmcnt(0)
	v_pk_add_f32 v[12:13], v[6:7], v[8:9]
	v_pk_add_f32 v[6:7], v[6:7], v[8:9] neg_lo:[0,1] neg_hi:[0,1]
	v_mov_b32_e32 v8, v13
	v_mov_b32_e32 v9, v6
	v_pk_mul_f32 v[8:9], v[8:9], 0.5 op_sel_hi:[1,0]
	s_nop 0
	v_mov_b32_e32 v13, v8
	v_mov_b32_e32 v6, v9
	v_pk_mul_f32 v[10:11], v[12:13], v[10:11]
	s_nop 0
	v_pk_fma_f32 v[12:13], v[2:3], v[6:7], v[10:11] neg_lo:[1,0,0] neg_hi:[1,0,0]
	v_pk_fma_f32 v[6:7], v[2:3], v[6:7], v[10:11]
	v_pk_fma_f32 v[10:11], v[14:15], v[8:9], v[12:13] op_sel_hi:[0,1,1] neg_lo:[1,0,0] neg_hi:[1,0,0]
	v_pk_fma_f32 v[12:13], v[14:15], v[8:9], v[6:7] op_sel_hi:[0,1,1]
	v_pk_fma_f32 v[6:7], v[14:15], v[8:9], v[6:7] op_sel_hi:[0,1,1] neg_lo:[1,0,0] neg_hi:[1,0,0]
	v_mov_b32_e32 v13, v7
	ds_write_b64 v1, v[12:13]
	ds_write_b64 v0, v[10:11] offset:6160
	ds_read_b64 v[6:7], v65 offset:3080
	ds_read_b64 v[8:9], v0 offset:5544
	v_mov_b32_e32 v10, v3
	s_waitcnt vmcnt(1)
	v_mov_b32_e32 v11, v5
	v_mov_b32_e32 v2, v5
	v_lshl_add_u32 v1, v48, 3, v64
	s_waitcnt lgkmcnt(0)
	v_pk_add_f32 v[12:13], v[6:7], v[8:9]
	v_pk_add_f32 v[6:7], v[6:7], v[8:9] neg_lo:[0,1] neg_hi:[0,1]
	v_mov_b32_e32 v8, v13
	v_mov_b32_e32 v9, v6
	v_pk_mul_f32 v[8:9], v[8:9], 0.5 op_sel_hi:[1,0]
	s_nop 0
	v_mov_b32_e32 v13, v8
	v_mov_b32_e32 v6, v9
	v_pk_mul_f32 v[10:11], v[12:13], v[10:11]
	s_nop 0
	v_pk_fma_f32 v[12:13], v[2:3], v[6:7], v[10:11] neg_lo:[1,0,0] neg_hi:[1,0,0]
	v_pk_fma_f32 v[6:7], v[2:3], v[6:7], v[10:11]
	v_pk_fma_f32 v[10:11], v[4:5], v[8:9], v[12:13] op_sel_hi:[0,1,1] neg_lo:[1,0,0] neg_hi:[1,0,0]
	v_pk_fma_f32 v[12:13], v[4:5], v[8:9], v[6:7] op_sel_hi:[0,1,1]
	v_pk_fma_f32 v[4:5], v[4:5], v[8:9], v[6:7] op_sel_hi:[0,1,1] neg_lo:[1,0,0] neg_hi:[1,0,0]
	v_mov_b32_e32 v13, v5
	ds_write_b64 v65, v[12:13] offset:3080
	ds_write_b64 v0, v[10:11] offset:5544
	ds_read_b64 v[4:5], v1
	ds_read_b64 v[6:7], v0 offset:4928
	v_mov_b32_e32 v8, v3
	s_waitcnt vmcnt(0)
	v_mov_b32_e32 v9, v17
	v_mov_b32_e32 v2, v17
	s_waitcnt lgkmcnt(0)
	v_pk_add_f32 v[10:11], v[4:5], v[6:7]
	v_pk_add_f32 v[4:5], v[4:5], v[6:7] neg_lo:[0,1] neg_hi:[0,1]
	v_mov_b32_e32 v6, v11
	v_mov_b32_e32 v7, v4
	v_pk_mul_f32 v[6:7], v[6:7], 0.5 op_sel_hi:[1,0]
	s_nop 0
	v_mov_b32_e32 v11, v6
	v_mov_b32_e32 v4, v7
	v_pk_mul_f32 v[8:9], v[10:11], v[8:9]
	s_nop 0
	v_pk_fma_f32 v[10:11], v[2:3], v[4:5], v[8:9] neg_lo:[1,0,0] neg_hi:[1,0,0]
	v_pk_fma_f32 v[2:3], v[2:3], v[4:5], v[8:9]
	v_pk_fma_f32 v[4:5], v[16:17], v[6:7], v[10:11] op_sel_hi:[0,1,1] neg_lo:[1,0,0] neg_hi:[1,0,0]
	v_pk_fma_f32 v[8:9], v[16:17], v[6:7], v[2:3] op_sel_hi:[0,1,1]
	v_pk_fma_f32 v[2:3], v[16:17], v[6:7], v[2:3] op_sel_hi:[0,1,1] neg_lo:[1,0,0] neg_hi:[1,0,0]
	v_mov_b32_e32 v9, v3
	ds_write_b64 v1, v[8:9]
	ds_write_b64 v0, v[4:5] offset:4928
	s_waitcnt lgkmcnt(0)
	s_barrier
	s_and_saveexec_b64 s[0:1], vcc
	s_cbranch_execz .LBB0_23
; %bb.21:
	v_mul_lo_u32 v2, s3, v42
	v_mul_lo_u32 v3, s2, v43
	v_mad_u64_u32 v[0:1], s[0:1], s2, v42, 0
	v_add3_u32 v1, v1, v3, v2
	v_lshl_add_u32 v2, v44, 3, v64
	ds_read2_b64 v[4:7], v2 offset1:77
	v_lshl_add_u64 v[0:1], v[0:1], 3, s[6:7]
	v_mov_b32_e32 v45, v47
	v_lshl_add_u64 v[0:1], v[40:41], 3, v[0:1]
	v_lshl_add_u64 v[8:9], v[44:45], 3, v[0:1]
	s_waitcnt lgkmcnt(0)
	global_store_dwordx2 v[8:9], v[4:5], off
	ds_read2_b64 v[8:11], v2 offset0:154 offset1:231
	v_add_u32_e32 v46, 0x4d, v44
	v_lshl_add_u64 v[4:5], v[46:47], 3, v[0:1]
	v_add_u32_e32 v46, 0x9a, v44
	global_store_dwordx2 v[4:5], v[6:7], off
	v_lshl_add_u64 v[4:5], v[46:47], 3, v[0:1]
	v_add_u32_e32 v3, 0x800, v2
	s_waitcnt lgkmcnt(0)
	global_store_dwordx2 v[4:5], v[8:9], off
	ds_read2_b64 v[4:7], v3 offset0:52 offset1:129
	v_add_u32_e32 v46, 0xe7, v44
	v_lshl_add_u64 v[8:9], v[46:47], 3, v[0:1]
	v_add_u32_e32 v46, 0x134, v44
	global_store_dwordx2 v[8:9], v[10:11], off
	v_lshl_add_u64 v[8:9], v[46:47], 3, v[0:1]
	v_add_u32_e32 v3, 0xc00, v2
	;; [unrolled: 9-line block ×4, first 2 shown]
	s_waitcnt lgkmcnt(0)
	global_store_dwordx2 v[8:9], v[4:5], off
	ds_read2_b64 v[8:11], v3 offset0:2 offset1:79
	v_add_u32_e32 v46, 0x2b5, v44
	v_lshl_add_u64 v[4:5], v[46:47], 3, v[0:1]
	v_add_u32_e32 v46, 0x302, v44
	global_store_dwordx2 v[4:5], v[6:7], off
	v_lshl_add_u64 v[4:5], v[46:47], 3, v[0:1]
	s_waitcnt lgkmcnt(0)
	global_store_dwordx2 v[4:5], v[8:9], off
	ds_read2_b64 v[4:7], v3 offset0:156 offset1:233
	v_add_u32_e32 v46, 0x34f, v44
	v_lshl_add_u64 v[8:9], v[46:47], 3, v[0:1]
	v_add_u32_e32 v46, 0x39c, v44
	global_store_dwordx2 v[8:9], v[10:11], off
	v_lshl_add_u64 v[8:9], v[46:47], 3, v[0:1]
	v_add_u32_e32 v46, 0x3e9, v44
	s_movk_i32 s0, 0x4c
	s_waitcnt lgkmcnt(0)
	global_store_dwordx2 v[8:9], v[4:5], off
	v_lshl_add_u64 v[4:5], v[46:47], 3, v[0:1]
	v_cmp_eq_u32_e32 vcc, s0, v44
	global_store_dwordx2 v[4:5], v[6:7], off
	s_and_b64 exec, exec, vcc
	s_cbranch_execz .LBB0_23
; %bb.22:
	ds_read_b64 v[2:3], v2 offset:8016
	v_add_co_u32_e32 v0, vcc, 0x2000, v0
	s_nop 1
	v_addc_co_u32_e32 v1, vcc, 0, v1, vcc
	s_waitcnt lgkmcnt(0)
	global_store_dwordx2 v[0:1], v[2:3], off offset:432
.LBB0_23:
	s_endpgm
	.section	.rodata,"a",@progbits
	.p2align	6, 0x0
	.amdhsa_kernel fft_rtc_fwd_len1078_factors_2_11_7_7_wgs_231_tpt_77_halfLds_sp_op_CI_CI_unitstride_sbrr_R2C_dirReg
		.amdhsa_group_segment_fixed_size 0
		.amdhsa_private_segment_fixed_size 0
		.amdhsa_kernarg_size 104
		.amdhsa_user_sgpr_count 2
		.amdhsa_user_sgpr_dispatch_ptr 0
		.amdhsa_user_sgpr_queue_ptr 0
		.amdhsa_user_sgpr_kernarg_segment_ptr 1
		.amdhsa_user_sgpr_dispatch_id 0
		.amdhsa_user_sgpr_kernarg_preload_length 0
		.amdhsa_user_sgpr_kernarg_preload_offset 0
		.amdhsa_user_sgpr_private_segment_size 0
		.amdhsa_uses_dynamic_stack 0
		.amdhsa_enable_private_segment 0
		.amdhsa_system_sgpr_workgroup_id_x 1
		.amdhsa_system_sgpr_workgroup_id_y 0
		.amdhsa_system_sgpr_workgroup_id_z 0
		.amdhsa_system_sgpr_workgroup_info 0
		.amdhsa_system_vgpr_workitem_id 0
		.amdhsa_next_free_vgpr 156
		.amdhsa_next_free_sgpr 48
		.amdhsa_accum_offset 156
		.amdhsa_reserve_vcc 1
		.amdhsa_float_round_mode_32 0
		.amdhsa_float_round_mode_16_64 0
		.amdhsa_float_denorm_mode_32 3
		.amdhsa_float_denorm_mode_16_64 3
		.amdhsa_dx10_clamp 1
		.amdhsa_ieee_mode 1
		.amdhsa_fp16_overflow 0
		.amdhsa_tg_split 0
		.amdhsa_exception_fp_ieee_invalid_op 0
		.amdhsa_exception_fp_denorm_src 0
		.amdhsa_exception_fp_ieee_div_zero 0
		.amdhsa_exception_fp_ieee_overflow 0
		.amdhsa_exception_fp_ieee_underflow 0
		.amdhsa_exception_fp_ieee_inexact 0
		.amdhsa_exception_int_div_zero 0
	.end_amdhsa_kernel
	.text
.Lfunc_end0:
	.size	fft_rtc_fwd_len1078_factors_2_11_7_7_wgs_231_tpt_77_halfLds_sp_op_CI_CI_unitstride_sbrr_R2C_dirReg, .Lfunc_end0-fft_rtc_fwd_len1078_factors_2_11_7_7_wgs_231_tpt_77_halfLds_sp_op_CI_CI_unitstride_sbrr_R2C_dirReg
                                        ; -- End function
	.section	.AMDGPU.csdata,"",@progbits
; Kernel info:
; codeLenInByte = 12328
; NumSgprs: 54
; NumVgprs: 156
; NumAgprs: 0
; TotalNumVgprs: 156
; ScratchSize: 0
; MemoryBound: 0
; FloatMode: 240
; IeeeMode: 1
; LDSByteSize: 0 bytes/workgroup (compile time only)
; SGPRBlocks: 6
; VGPRBlocks: 19
; NumSGPRsForWavesPerEU: 54
; NumVGPRsForWavesPerEU: 156
; AccumOffset: 156
; Occupancy: 3
; WaveLimiterHint : 1
; COMPUTE_PGM_RSRC2:SCRATCH_EN: 0
; COMPUTE_PGM_RSRC2:USER_SGPR: 2
; COMPUTE_PGM_RSRC2:TRAP_HANDLER: 0
; COMPUTE_PGM_RSRC2:TGID_X_EN: 1
; COMPUTE_PGM_RSRC2:TGID_Y_EN: 0
; COMPUTE_PGM_RSRC2:TGID_Z_EN: 0
; COMPUTE_PGM_RSRC2:TIDIG_COMP_CNT: 0
; COMPUTE_PGM_RSRC3_GFX90A:ACCUM_OFFSET: 38
; COMPUTE_PGM_RSRC3_GFX90A:TG_SPLIT: 0
	.text
	.p2alignl 6, 3212836864
	.fill 256, 4, 3212836864
	.type	__hip_cuid_c4ce12cfa539c7ec,@object ; @__hip_cuid_c4ce12cfa539c7ec
	.section	.bss,"aw",@nobits
	.globl	__hip_cuid_c4ce12cfa539c7ec
__hip_cuid_c4ce12cfa539c7ec:
	.byte	0                               ; 0x0
	.size	__hip_cuid_c4ce12cfa539c7ec, 1

	.ident	"AMD clang version 19.0.0git (https://github.com/RadeonOpenCompute/llvm-project roc-6.4.0 25133 c7fe45cf4b819c5991fe208aaa96edf142730f1d)"
	.section	".note.GNU-stack","",@progbits
	.addrsig
	.addrsig_sym __hip_cuid_c4ce12cfa539c7ec
	.amdgpu_metadata
---
amdhsa.kernels:
  - .agpr_count:     0
    .args:
      - .actual_access:  read_only
        .address_space:  global
        .offset:         0
        .size:           8
        .value_kind:     global_buffer
      - .offset:         8
        .size:           8
        .value_kind:     by_value
      - .actual_access:  read_only
        .address_space:  global
        .offset:         16
        .size:           8
        .value_kind:     global_buffer
      - .actual_access:  read_only
        .address_space:  global
        .offset:         24
        .size:           8
        .value_kind:     global_buffer
      - .actual_access:  read_only
        .address_space:  global
        .offset:         32
        .size:           8
        .value_kind:     global_buffer
      - .offset:         40
        .size:           8
        .value_kind:     by_value
      - .actual_access:  read_only
        .address_space:  global
        .offset:         48
        .size:           8
        .value_kind:     global_buffer
      - .actual_access:  read_only
        .address_space:  global
        .offset:         56
        .size:           8
        .value_kind:     global_buffer
      - .offset:         64
        .size:           4
        .value_kind:     by_value
      - .actual_access:  read_only
        .address_space:  global
        .offset:         72
        .size:           8
        .value_kind:     global_buffer
      - .actual_access:  read_only
        .address_space:  global
        .offset:         80
        .size:           8
        .value_kind:     global_buffer
      - .actual_access:  read_only
        .address_space:  global
        .offset:         88
        .size:           8
        .value_kind:     global_buffer
      - .actual_access:  write_only
        .address_space:  global
        .offset:         96
        .size:           8
        .value_kind:     global_buffer
    .group_segment_fixed_size: 0
    .kernarg_segment_align: 8
    .kernarg_segment_size: 104
    .language:       OpenCL C
    .language_version:
      - 2
      - 0
    .max_flat_workgroup_size: 231
    .name:           fft_rtc_fwd_len1078_factors_2_11_7_7_wgs_231_tpt_77_halfLds_sp_op_CI_CI_unitstride_sbrr_R2C_dirReg
    .private_segment_fixed_size: 0
    .sgpr_count:     54
    .sgpr_spill_count: 0
    .symbol:         fft_rtc_fwd_len1078_factors_2_11_7_7_wgs_231_tpt_77_halfLds_sp_op_CI_CI_unitstride_sbrr_R2C_dirReg.kd
    .uniform_work_group_size: 1
    .uses_dynamic_stack: false
    .vgpr_count:     156
    .vgpr_spill_count: 0
    .wavefront_size: 64
amdhsa.target:   amdgcn-amd-amdhsa--gfx950
amdhsa.version:
  - 1
  - 2
...

	.end_amdgpu_metadata
